;; amdgpu-corpus repo=llvm/llvm-project kind=harvested arch=n/a opt=n/a
// NOTE: Assertions have been autogenerated by utils/update_mc_test_checks.py UTC_ARGS: --version 6
// RUN: not llvm-mc -triple=amdgcn -mcpu=gfx1310 -mattr=+wavefrontsize32,-real-true16 -show-encoding %s | FileCheck --check-prefixes=GFX13,W32,GFX13-ASM,W32-ASM %s
// RUN: not llvm-mc -triple=amdgcn -mcpu=gfx1310 -mattr=+wavefrontsize32,-real-true16 -show-encoding %s | %extract-encodings | llvm-mc -triple=amdgcn -mcpu=gfx1310 -mattr=+wavefrontsize32,-real-true16 -disassemble -show-encoding | FileCheck --check-prefixes=GFX13,W32,GFX13-DIS,W32-DIS %s
// RUN: not llvm-mc -triple=amdgcn -mcpu=gfx1310 -mattr=+wavefrontsize64,-real-true16 -show-encoding %s | FileCheck --check-prefixes=GFX13,W64,GFX13-ASM,W64-ASM %s
// RUN: not llvm-mc -triple=amdgcn -mcpu=gfx1310 -mattr=+wavefrontsize64,-real-true16 -show-encoding %s | %extract-encodings | llvm-mc -triple=amdgcn -mcpu=gfx1310 -mattr=+wavefrontsize64,-real-true16 -disassemble -show-encoding | FileCheck --check-prefixes=GFX13,W64,GFX13-DIS,W64-DIS %s
// RUN: not llvm-mc -triple=amdgcn -mcpu=gfx1310 -mattr=+wavefrontsize32,-real-true16 -filetype=null %s 2>&1 | FileCheck --check-prefixes=W32-ERR --implicit-check-not=error: %s
// RUN: not llvm-mc -triple=amdgcn -mcpu=gfx1310 -mattr=+wavefrontsize64,-real-true16 -filetype=null %s 2>&1 | FileCheck --check-prefixes=W64-ERR --implicit-check-not=error: %s

v_add3_u32 v5, v1, v2, s3
// GFX13: v_add3_u32 v5, v1, v2, s3               ; encoding: [0x05,0x00,0x6d,0xd7,0x01,0x05,0x0e,0x00]

v_add3_u32 v5, v255, s2, s105
// GFX13: v_add3_u32 v5, v255, s2, s105           ; encoding: [0x05,0x00,0x6d,0xd7,0xff,0x05,0xa4,0x01]

v_add3_u32 v5, s1, v255, exec_hi
// GFX13: v_add3_u32 v5, s1, v255, exec_hi        ; encoding: [0x05,0x00,0x6d,0xd7,0x01,0xfe,0xff,0x01]

v_add3_u32 v5, s105, s105, exec_lo
// GFX13: v_add3_u32 v5, s105, s105, exec_lo      ; encoding: [0x05,0x00,0x6d,0xd7,0x69,0xd2,0xf8,0x01]

v_add3_u32 v5, vcc_lo, ttmp15, v3
// GFX13: v_add3_u32 v5, vcc_lo, ttmp15, v3       ; encoding: [0x05,0x00,0x6d,0xd7,0x6a,0xf6,0x0c,0x04]

v_add3_u32 v5, vcc_hi, 0xaf123456, v255
// GFX13: v_add3_u32 v5, vcc_hi, 0xaf123456, v255 ; encoding: [0x05,0x00,0x6d,0xd7,0x6b,0xfe,0xfd,0x07,0x56,0x34,0x12,0xaf]

v_add3_u32 v5, ttmp15, src_scc, ttmp15
// GFX13: v_add3_u32 v5, ttmp15, src_scc, ttmp15  ; encoding: [0x05,0x00,0x6d,0xd7,0x7b,0xfa,0xed,0x01]

v_add3_u32 v5, m0, 0.5, m0
// GFX13: v_add3_u32 v5, m0, 0.5, m0              ; encoding: [0x05,0x00,0x6d,0xd7,0x7d,0xe0,0xf5,0x01]

v_add3_u32 v5, exec_lo, -1, vcc_hi
// GFX13: v_add3_u32 v5, exec_lo, -1, vcc_hi      ; encoding: [0x05,0x00,0x6d,0xd7,0x7e,0x82,0xad,0x01]

v_add3_u32 v5, exec_hi, null, vcc_lo
// GFX13: v_add3_u32 v5, exec_hi, null, vcc_lo    ; encoding: [0x05,0x00,0x6d,0xd7,0x7f,0xf8,0xa8,0x01]

v_add3_u32 v5, null, exec_lo, 0xaf123456
// GFX13: v_add3_u32 v5, null, exec_lo, 0xaf123456 ; encoding: [0x05,0x00,0x6d,0xd7,0x7c,0xfc,0xfc,0x03,0x56,0x34,0x12,0xaf]

v_add3_u32 v5, -1, exec_hi, src_scc
// GFX13: v_add3_u32 v5, -1, exec_hi, src_scc     ; encoding: [0x05,0x00,0x6d,0xd7,0xc1,0xfe,0xf4,0x03]

v_add3_u32 v5, 0.5, m0, 0.5
// GFX13: v_add3_u32 v5, 0.5, m0, 0.5             ; encoding: [0x05,0x00,0x6d,0xd7,0xf0,0xfa,0xc0,0x03]

v_add3_u32 v5, src_scc, vcc_lo, -1
// GFX13: v_add3_u32 v5, src_scc, vcc_lo, -1      ; encoding: [0x05,0x00,0x6d,0xd7,0xfd,0xd4,0x04,0x03]

v_add3_u32 v255, 0xaf123456, vcc_hi, null
// GFX13: v_add3_u32 v255, 0xaf123456, vcc_hi, null ; encoding: [0xff,0x00,0x6d,0xd7,0xff,0xd6,0xf0,0x01,0x56,0x34,0x12,0xaf]

v_add_co_u32 v5, s6, v1, v2
// W32: v_add_co_u32 v5, s6, v1, v2             ; encoding: [0x05,0x06,0x0f,0xd7,0x01,0x05,0x02,0x02]
// W64-ERR: :[[@LINE-2]]:18: error: invalid operand for instruction

v_add_co_u32 v5, s6, v255, v255
// W32: v_add_co_u32 v5, s6, v255, v255         ; encoding: [0x05,0x06,0x0f,0xd7,0xff,0xff,0x03,0x02]
// W64-ERR: :[[@LINE-2]]:18: error: invalid operand for instruction

v_add_co_u32 v5, s6, s1, s2
// W32: v_add_co_u32 v5, s6, s1, s2             ; encoding: [0x05,0x06,0x0f,0xd7,0x01,0x04,0x00,0x02]
// W64-ERR: :[[@LINE-2]]:18: error: invalid operand for instruction

v_add_co_u32 v5, s6, s105, s105
// W32: v_add_co_u32 v5, s6, s105, s105         ; encoding: [0x05,0x06,0x0f,0xd7,0x69,0xd2,0x00,0x02]
// W64-ERR: :[[@LINE-2]]:18: error: invalid operand for instruction

v_add_co_u32 v5, s6, vcc_lo, ttmp15
// W32: v_add_co_u32 v5, s6, vcc_lo, ttmp15     ; encoding: [0x05,0x06,0x0f,0xd7,0x6a,0xf6,0x00,0x02]
// W64-ERR: :[[@LINE-2]]:18: error: invalid operand for instruction

v_add_co_u32 v5, s6, vcc_hi, 0xaf123456
// W32: v_add_co_u32 v5, s6, vcc_hi, 0xaf123456 ; encoding: [0x05,0x06,0x0f,0xd7,0x6b,0xfe,0x01,0x02,0x56,0x34,0x12,0xaf]
// W64-ERR: :[[@LINE-2]]:18: error: invalid operand for instruction

v_add_co_u32 v5, s6, ttmp15, src_scc
// W32: v_add_co_u32 v5, s6, ttmp15, src_scc    ; encoding: [0x05,0x06,0x0f,0xd7,0x7b,0xfa,0x01,0x02]
// W64-ERR: :[[@LINE-2]]:18: error: invalid operand for instruction

v_add_co_u32 v5, s6, m0, 0.5
// W32: v_add_co_u32 v5, s6, m0, 0.5            ; encoding: [0x05,0x06,0x0f,0xd7,0x7d,0xe0,0x01,0x02]
// W64-ERR: :[[@LINE-2]]:18: error: invalid operand for instruction

v_add_co_u32 v5, s6, exec_lo, -1
// W32: v_add_co_u32 v5, s6, exec_lo, -1        ; encoding: [0x05,0x06,0x0f,0xd7,0x7e,0x82,0x01,0x02]
// W64-ERR: :[[@LINE-2]]:18: error: invalid operand for instruction

v_add_co_u32 v5, s6, exec_hi, null
// W32: v_add_co_u32 v5, s6, exec_hi, null      ; encoding: [0x05,0x06,0x0f,0xd7,0x7f,0xf8,0x00,0x02]
// W64-ERR: :[[@LINE-2]]:18: error: invalid operand for instruction

v_add_co_u32 v5, s105, null, exec_lo
// W32: v_add_co_u32 v5, s105, null, exec_lo    ; encoding: [0x05,0x69,0x0f,0xd7,0x7c,0xfc,0x00,0x02]
// W64-ERR: :[[@LINE-2]]:18: error: invalid operand for instruction

v_add_co_u32 v5, vcc_lo, -1, exec_hi
// W32: v_add_co_u32 v5, vcc_lo, -1, exec_hi    ; encoding: [0x05,0x6a,0x0f,0xd7,0xc1,0xfe,0x00,0x02]
// W64-ERR: :[[@LINE-2]]:18: error: invalid operand for instruction

v_add_co_u32 v5, vcc_hi, 0.5, m0
// W32: v_add_co_u32 v5, vcc_hi, 0.5, m0        ; encoding: [0x05,0x6b,0x0f,0xd7,0xf0,0xfa,0x00,0x02]
// W64-ERR: :[[@LINE-2]]:18: error: invalid operand for instruction

v_add_co_u32 v5, ttmp15, src_scc, vcc_lo
// W32: v_add_co_u32 v5, ttmp15, src_scc, vcc_lo ; encoding: [0x05,0x7b,0x0f,0xd7,0xfd,0xd4,0x00,0x02]
// W64-ERR: :[[@LINE-2]]:18: error: invalid operand for instruction

v_add_co_u32 v5, s[12:13], v1, v2
// W32-ERR: :[[@LINE-1]]:18: error: invalid operand for instruction
// W64: v_add_co_u32 v5, s[12:13], v1, v2       ; encoding: [0x05,0x0c,0x0f,0xd7,0x01,0x05,0x02,0x02]

v_add_co_u32 v5, s[12:13], v255, v255
// W32-ERR: :[[@LINE-1]]:18: error: invalid operand for instruction
// W64: v_add_co_u32 v5, s[12:13], v255, v255   ; encoding: [0x05,0x0c,0x0f,0xd7,0xff,0xff,0x03,0x02]

v_add_co_u32 v5, s[12:13], s1, s2
// W32-ERR: :[[@LINE-1]]:18: error: invalid operand for instruction
// W64: v_add_co_u32 v5, s[12:13], s1, s2       ; encoding: [0x05,0x0c,0x0f,0xd7,0x01,0x04,0x00,0x02]

v_add_co_u32 v5, s[12:13], s105, s105
// W32-ERR: :[[@LINE-1]]:18: error: invalid operand for instruction
// W64: v_add_co_u32 v5, s[12:13], s105, s105   ; encoding: [0x05,0x0c,0x0f,0xd7,0x69,0xd2,0x00,0x02]

v_add_co_u32 v5, s[12:13], vcc_lo, ttmp15
// W32-ERR: :[[@LINE-1]]:18: error: invalid operand for instruction
// W64: v_add_co_u32 v5, s[12:13], vcc_lo, ttmp15 ; encoding: [0x05,0x0c,0x0f,0xd7,0x6a,0xf6,0x00,0x02]

v_add_co_u32 v5, s[12:13], vcc_hi, 0xaf123456
// W32-ERR: :[[@LINE-1]]:18: error: invalid operand for instruction
// W64: v_add_co_u32 v5, s[12:13], vcc_hi, 0xaf123456 ; encoding: [0x05,0x0c,0x0f,0xd7,0x6b,0xfe,0x01,0x02,0x56,0x34,0x12,0xaf]

v_add_co_u32 v5, s[12:13], ttmp15, src_scc
// W32-ERR: :[[@LINE-1]]:18: error: invalid operand for instruction
// W64: v_add_co_u32 v5, s[12:13], ttmp15, src_scc ; encoding: [0x05,0x0c,0x0f,0xd7,0x7b,0xfa,0x01,0x02]

v_add_co_u32 v5, s[12:13], m0, 0.5
// W32-ERR: :[[@LINE-1]]:18: error: invalid operand for instruction
// W64: v_add_co_u32 v5, s[12:13], m0, 0.5      ; encoding: [0x05,0x0c,0x0f,0xd7,0x7d,0xe0,0x01,0x02]

v_add_co_u32 v5, s[12:13], exec_lo, -1
// W32-ERR: :[[@LINE-1]]:18: error: invalid operand for instruction
// W64: v_add_co_u32 v5, s[12:13], exec_lo, -1  ; encoding: [0x05,0x0c,0x0f,0xd7,0x7e,0x82,0x01,0x02]

v_add_co_u32 v5, s[12:13], exec_hi, null
// W32-ERR: :[[@LINE-1]]:18: error: invalid operand for instruction
// W64: v_add_co_u32 v5, s[12:13], exec_hi, null ; encoding: [0x05,0x0c,0x0f,0xd7,0x7f,0xf8,0x00,0x02]

v_add_co_u32 v5, s[12:13], null, exec_lo
// W32-ERR: :[[@LINE-1]]:18: error: invalid operand for instruction
// W64: v_add_co_u32 v5, s[12:13], null, exec_lo ; encoding: [0x05,0x0c,0x0f,0xd7,0x7c,0xfc,0x00,0x02]

v_add_co_u32 v5, s[104:105], -1, exec_hi
// W32-ERR: :[[@LINE-1]]:18: error: invalid operand for instruction
// W64: v_add_co_u32 v5, s[104:105], -1, exec_hi ; encoding: [0x05,0x68,0x0f,0xd7,0xc1,0xfe,0x00,0x02]

v_add_co_u32 v5, vcc, 0.5, m0
// W32-ERR: :[[@LINE-1]]:1: error: operands are not valid for this GPU or mode
// W64: v_add_co_u32 v5, vcc, 0.5, m0           ; encoding: [0x05,0x6a,0x0f,0xd7,0xf0,0xfa,0x00,0x02]

v_add_co_u32 v5, ttmp[14:15], src_scc, vcc_lo
// W32-ERR: :[[@LINE-1]]:18: error: invalid operand for instruction
// W64: v_add_co_u32 v5, ttmp[14:15], src_scc, vcc_lo ; encoding: [0x05,0x7a,0x0f,0xd7,0xfd,0xd4,0x00,0x02]

v_add_co_u32 v255, null, 0xaf123456, vcc_hi clamp
// GFX13: v_add_co_u32 v255, null, 0xaf123456, vcc_hi clamp ; encoding: [0xff,0xfc,0x0f,0xd7,0xff,0xd6,0x00,0x02,0x56,0x34,0x12,0xaf]

v_add_lshl_u32 v5, v1, v2, s3
// GFX13: v_add_lshl_u32 v5, v1, v2, s3           ; encoding: [0x05,0x00,0x47,0xd7,0x01,0x05,0x0e,0x00]

v_add_lshl_u32 v5, v255, s2, s105
// GFX13: v_add_lshl_u32 v5, v255, s2, s105       ; encoding: [0x05,0x00,0x47,0xd7,0xff,0x05,0xa4,0x01]

v_add_lshl_u32 v5, s1, v255, exec_hi
// GFX13: v_add_lshl_u32 v5, s1, v255, exec_hi    ; encoding: [0x05,0x00,0x47,0xd7,0x01,0xfe,0xff,0x01]

v_add_lshl_u32 v5, s105, s105, exec_lo
// GFX13: v_add_lshl_u32 v5, s105, s105, exec_lo  ; encoding: [0x05,0x00,0x47,0xd7,0x69,0xd2,0xf8,0x01]

v_add_lshl_u32 v5, vcc_lo, ttmp15, v3
// GFX13: v_add_lshl_u32 v5, vcc_lo, ttmp15, v3   ; encoding: [0x05,0x00,0x47,0xd7,0x6a,0xf6,0x0c,0x04]

v_add_lshl_u32 v5, vcc_hi, 0xaf123456, v255
// GFX13: v_add_lshl_u32 v5, vcc_hi, 0xaf123456, v255 ; encoding: [0x05,0x00,0x47,0xd7,0x6b,0xfe,0xfd,0x07,0x56,0x34,0x12,0xaf]

v_add_lshl_u32 v5, ttmp15, src_scc, ttmp15
// GFX13: v_add_lshl_u32 v5, ttmp15, src_scc, ttmp15 ; encoding: [0x05,0x00,0x47,0xd7,0x7b,0xfa,0xed,0x01]

v_add_lshl_u32 v5, m0, 0.5, m0
// GFX13: v_add_lshl_u32 v5, m0, 0.5, m0          ; encoding: [0x05,0x00,0x47,0xd7,0x7d,0xe0,0xf5,0x01]

v_add_lshl_u32 v5, exec_lo, -1, vcc_hi
// GFX13: v_add_lshl_u32 v5, exec_lo, -1, vcc_hi  ; encoding: [0x05,0x00,0x47,0xd7,0x7e,0x82,0xad,0x01]

v_add_lshl_u32 v5, exec_hi, null, vcc_lo
// GFX13: v_add_lshl_u32 v5, exec_hi, null, vcc_lo ; encoding: [0x05,0x00,0x47,0xd7,0x7f,0xf8,0xa8,0x01]

v_add_lshl_u32 v5, null, exec_lo, 0xaf123456
// GFX13: v_add_lshl_u32 v5, null, exec_lo, 0xaf123456 ; encoding: [0x05,0x00,0x47,0xd7,0x7c,0xfc,0xfc,0x03,0x56,0x34,0x12,0xaf]

v_add_lshl_u32 v5, -1, exec_hi, src_scc
// GFX13: v_add_lshl_u32 v5, -1, exec_hi, src_scc ; encoding: [0x05,0x00,0x47,0xd7,0xc1,0xfe,0xf4,0x03]

v_add_lshl_u32 v5, 0.5, m0, 0.5
// GFX13: v_add_lshl_u32 v5, 0.5, m0, 0.5         ; encoding: [0x05,0x00,0x47,0xd7,0xf0,0xfa,0xc0,0x03]

v_add_lshl_u32 v5, src_scc, vcc_lo, -1
// GFX13: v_add_lshl_u32 v5, src_scc, vcc_lo, -1  ; encoding: [0x05,0x00,0x47,0xd7,0xfd,0xd4,0x04,0x03]

v_add_lshl_u32 v255, 0xaf123456, vcc_hi, null
// GFX13: v_add_lshl_u32 v255, 0xaf123456, vcc_hi, null ; encoding: [0xff,0x00,0x47,0xd7,0xff,0xd6,0xf0,0x01,0x56,0x34,0x12,0xaf]

v_add_nc_i16 v5, v1, v2
// GFX13: v_add_nc_i16 v5, v1, v2                 ; encoding: [0x05,0x00,0x0d,0xd7,0x01,0x05,0x02,0x02]

v_add_nc_i16 v5, v255, v255
// GFX13: v_add_nc_i16 v5, v255, v255             ; encoding: [0x05,0x00,0x0d,0xd7,0xff,0xff,0x03,0x02]

v_add_nc_i16 v5, s1, s2
// GFX13: v_add_nc_i16 v5, s1, s2                 ; encoding: [0x05,0x00,0x0d,0xd7,0x01,0x04,0x00,0x02]

v_add_nc_i16 v5, s105, s105
// GFX13: v_add_nc_i16 v5, s105, s105             ; encoding: [0x05,0x00,0x0d,0xd7,0x69,0xd2,0x00,0x02]

v_add_nc_i16 v5, vcc_lo, ttmp15
// GFX13: v_add_nc_i16 v5, vcc_lo, ttmp15         ; encoding: [0x05,0x00,0x0d,0xd7,0x6a,0xf6,0x00,0x02]

v_add_nc_i16 v5, vcc_hi, 0xfe0b
// GFX13: v_add_nc_i16 v5, vcc_hi, 0xfe0b         ; encoding: [0x05,0x00,0x0d,0xd7,0x6b,0xfe,0x01,0x02,0x0b,0xfe,0x00,0x00]

v_add_nc_i16 v5, ttmp15, src_scc
// GFX13: v_add_nc_i16 v5, ttmp15, src_scc        ; encoding: [0x05,0x00,0x0d,0xd7,0x7b,0xfa,0x01,0x02]

v_add_nc_i16 v5, m0, 0.5
// GFX13: v_add_nc_i16 v5, m0, 0.5                ; encoding: [0x05,0x00,0x0d,0xd7,0x7d,0xe0,0x01,0x02]

v_add_nc_i16 v5, exec_lo, -1
// GFX13: v_add_nc_i16 v5, exec_lo, -1            ; encoding: [0x05,0x00,0x0d,0xd7,0x7e,0x82,0x01,0x02]

v_add_nc_i16 v5, exec_hi, null
// GFX13: v_add_nc_i16 v5, exec_hi, null          ; encoding: [0x05,0x00,0x0d,0xd7,0x7f,0xf8,0x00,0x02]

v_add_nc_i16 v5, null, exec_lo op_sel:[1,1,1]
// GFX13: v_add_nc_i16 v5, null, exec_lo op_sel:[1,1,1] ; encoding: [0x05,0x58,0x0d,0xd7,0x7c,0xfc,0x00,0x02]

v_add_nc_i16 v5, -1, exec_hi op_sel:[0,0,0]
// GFX13: v_add_nc_i16 v5, -1, exec_hi            ; encoding: [0x05,0x00,0x0d,0xd7,0xc1,0xfe,0x00,0x02]

v_add_nc_i16 v5, 0.5, m0 op_sel:[1,0,0]
// GFX13: v_add_nc_i16 v5, 0.5, m0 op_sel:[1,0,0] ; encoding: [0x05,0x08,0x0d,0xd7,0xf0,0xfa,0x00,0x02]

v_add_nc_i16 v5, src_scc, vcc_lo op_sel:[0,1,0]
// GFX13: v_add_nc_i16 v5, src_scc, vcc_lo op_sel:[0,1,0] ; encoding: [0x05,0x10,0x0d,0xd7,0xfd,0xd4,0x00,0x02]

v_add_nc_i16 v255, 0xfe0b, vcc_hi op_sel:[0,0,1] clamp
// GFX13: v_add_nc_i16 v255, 0xfe0b, vcc_hi op_sel:[0,0,1] clamp ; encoding: [0xff,0xc0,0x0d,0xd7,0xff,0xd6,0x00,0x02,0x0b,0xfe,0x00,0x00]

v_add_nc_i32 v5, v1, v2
// GFX13: v_add_nc_i32 v5, v1, v2                 ; encoding: [0x05,0x00,0x7f,0xd7,0x01,0x05,0x02,0x02]

v_add_nc_i32 v5, v255, v255
// GFX13: v_add_nc_i32 v5, v255, v255             ; encoding: [0x05,0x00,0x7f,0xd7,0xff,0xff,0x03,0x02]

v_add_nc_i32 v5, s1, s2
// GFX13: v_add_nc_i32 v5, s1, s2                 ; encoding: [0x05,0x00,0x7f,0xd7,0x01,0x04,0x00,0x02]

v_add_nc_i32 v5, s105, s105
// GFX13: v_add_nc_i32 v5, s105, s105             ; encoding: [0x05,0x00,0x7f,0xd7,0x69,0xd2,0x00,0x02]

v_add_nc_i32 v5, vcc_lo, ttmp15
// GFX13: v_add_nc_i32 v5, vcc_lo, ttmp15         ; encoding: [0x05,0x00,0x7f,0xd7,0x6a,0xf6,0x00,0x02]

v_add_nc_i32 v5, vcc_hi, 0xaf123456
// GFX13: v_add_nc_i32 v5, vcc_hi, 0xaf123456     ; encoding: [0x05,0x00,0x7f,0xd7,0x6b,0xfe,0x01,0x02,0x56,0x34,0x12,0xaf]

v_add_nc_i32 v5, ttmp15, src_scc
// GFX13: v_add_nc_i32 v5, ttmp15, src_scc        ; encoding: [0x05,0x00,0x7f,0xd7,0x7b,0xfa,0x01,0x02]

v_add_nc_i32 v5, m0, 0.5
// GFX13: v_add_nc_i32 v5, m0, 0.5                ; encoding: [0x05,0x00,0x7f,0xd7,0x7d,0xe0,0x01,0x02]

v_add_nc_i32 v5, exec_lo, -1
// GFX13: v_add_nc_i32 v5, exec_lo, -1            ; encoding: [0x05,0x00,0x7f,0xd7,0x7e,0x82,0x01,0x02]

v_add_nc_i32 v5, exec_hi, null
// GFX13: v_add_nc_i32 v5, exec_hi, null          ; encoding: [0x05,0x00,0x7f,0xd7,0x7f,0xf8,0x00,0x02]

v_add_nc_i32 v5, null, exec_lo
// GFX13: v_add_nc_i32 v5, null, exec_lo          ; encoding: [0x05,0x00,0x7f,0xd7,0x7c,0xfc,0x00,0x02]

v_add_nc_i32 v5, -1, exec_hi
// GFX13: v_add_nc_i32 v5, -1, exec_hi            ; encoding: [0x05,0x00,0x7f,0xd7,0xc1,0xfe,0x00,0x02]

v_add_nc_i32 v5, 0.5, m0
// GFX13: v_add_nc_i32 v5, 0.5, m0                ; encoding: [0x05,0x00,0x7f,0xd7,0xf0,0xfa,0x00,0x02]

v_add_nc_i32 v5, src_scc, vcc_lo
// GFX13: v_add_nc_i32 v5, src_scc, vcc_lo        ; encoding: [0x05,0x00,0x7f,0xd7,0xfd,0xd4,0x00,0x02]

v_add_nc_i32 v255, 0xaf123456, vcc_hi clamp
// GFX13: v_add_nc_i32 v255, 0xaf123456, vcc_hi clamp ; encoding: [0xff,0x80,0x7f,0xd7,0xff,0xd6,0x00,0x02,0x56,0x34,0x12,0xaf]

v_add_nc_u16 v5, v1, v2
// GFX13: v_add_nc_u16 v5, v1, v2                 ; encoding: [0x05,0x00,0x03,0xd7,0x01,0x05,0x02,0x02]

v_add_nc_u16 v5, v255, v255
// GFX13: v_add_nc_u16 v5, v255, v255             ; encoding: [0x05,0x00,0x03,0xd7,0xff,0xff,0x03,0x02]

v_add_nc_u16 v5, s1, s2
// GFX13: v_add_nc_u16 v5, s1, s2                 ; encoding: [0x05,0x00,0x03,0xd7,0x01,0x04,0x00,0x02]

v_add_nc_u16 v5, s105, s105
// GFX13: v_add_nc_u16 v5, s105, s105             ; encoding: [0x05,0x00,0x03,0xd7,0x69,0xd2,0x00,0x02]

v_add_nc_u16 v5, vcc_lo, ttmp15
// GFX13: v_add_nc_u16 v5, vcc_lo, ttmp15         ; encoding: [0x05,0x00,0x03,0xd7,0x6a,0xf6,0x00,0x02]

v_add_nc_u16 v5, vcc_hi, 0xfe0b
// GFX13: v_add_nc_u16 v5, vcc_hi, 0xfe0b         ; encoding: [0x05,0x00,0x03,0xd7,0x6b,0xfe,0x01,0x02,0x0b,0xfe,0x00,0x00]

v_add_nc_u16 v5, ttmp15, src_scc
// GFX13: v_add_nc_u16 v5, ttmp15, src_scc        ; encoding: [0x05,0x00,0x03,0xd7,0x7b,0xfa,0x01,0x02]

v_add_nc_u16 v5, m0, 0.5
// GFX13: v_add_nc_u16 v5, m0, 0.5                ; encoding: [0x05,0x00,0x03,0xd7,0x7d,0xe0,0x01,0x02]

v_add_nc_u16 v5, exec_lo, -1
// GFX13: v_add_nc_u16 v5, exec_lo, -1            ; encoding: [0x05,0x00,0x03,0xd7,0x7e,0x82,0x01,0x02]

v_add_nc_u16 v5, exec_hi, null
// GFX13: v_add_nc_u16 v5, exec_hi, null          ; encoding: [0x05,0x00,0x03,0xd7,0x7f,0xf8,0x00,0x02]

v_add_nc_u16 v5, null, exec_lo op_sel:[1,1,1]
// GFX13: v_add_nc_u16 v5, null, exec_lo op_sel:[1,1,1] ; encoding: [0x05,0x58,0x03,0xd7,0x7c,0xfc,0x00,0x02]

v_add_nc_u16 v5, -1, exec_hi op_sel:[0,0,0]
// GFX13: v_add_nc_u16 v5, -1, exec_hi            ; encoding: [0x05,0x00,0x03,0xd7,0xc1,0xfe,0x00,0x02]

v_add_nc_u16 v5, 0.5, m0 op_sel:[1,0,0]
// GFX13: v_add_nc_u16 v5, 0.5, m0 op_sel:[1,0,0] ; encoding: [0x05,0x08,0x03,0xd7,0xf0,0xfa,0x00,0x02]

v_add_nc_u16 v5, src_scc, vcc_lo op_sel:[0,1,0]
// GFX13: v_add_nc_u16 v5, src_scc, vcc_lo op_sel:[0,1,0] ; encoding: [0x05,0x10,0x03,0xd7,0xfd,0xd4,0x00,0x02]

v_add_nc_u16 v255, 0xfe0b, vcc_hi op_sel:[0,0,1] clamp
// GFX13: v_add_nc_u16 v255, 0xfe0b, vcc_hi op_sel:[0,0,1] clamp ; encoding: [0xff,0xc0,0x03,0xd7,0xff,0xd6,0x00,0x02,0x0b,0xfe,0x00,0x00]

v_alignbit_b32 v5, v1, v2, s3
// GFX13: v_alignbit_b32 v5, v1, v2, s3           ; encoding: [0x05,0x00,0x16,0xd6,0x01,0x05,0x0e,0x00]

v_alignbit_b32 v5, v255, s2, s3
// GFX13: v_alignbit_b32 v5, v255, s2, s3         ; encoding: [0x05,0x00,0x16,0xd6,0xff,0x05,0x0c,0x00]

v_alignbit_b32 v5, s1, v255, s3
// GFX13: v_alignbit_b32 v5, s1, v255, s3         ; encoding: [0x05,0x00,0x16,0xd6,0x01,0xfe,0x0f,0x00]

v_alignbit_b32 v5, s105, s105, s105
// GFX13: v_alignbit_b32 v5, s105, s105, s105     ; encoding: [0x05,0x00,0x16,0xd6,0x69,0xd2,0xa4,0x01]

v_alignbit_b32 v5, vcc_lo, ttmp15, v3
// GFX13: v_alignbit_b32 v5, vcc_lo, ttmp15, v3   ; encoding: [0x05,0x00,0x16,0xd6,0x6a,0xf6,0x0c,0x04]

v_alignbit_b32 v5, vcc_hi, 0xaf123456, v255
// GFX13: v_alignbit_b32 v5, vcc_hi, 0xaf123456, v255 ; encoding: [0x05,0x00,0x16,0xd6,0x6b,0xfe,0xfd,0x07,0x56,0x34,0x12,0xaf]

v_alignbit_b32 v5, ttmp15, src_scc, ttmp15
// GFX13: v_alignbit_b32 v5, ttmp15, src_scc, ttmp15 ; encoding: [0x05,0x00,0x16,0xd6,0x7b,0xfa,0xed,0x01]

v_alignbit_b32 v5, m0, 0.5, exec_lo
// GFX13: v_alignbit_b32 v5, m0, 0.5, exec_lo     ; encoding: [0x05,0x00,0x16,0xd6,0x7d,0xe0,0xf9,0x01]

v_alignbit_b32 v5, exec_lo, -1, m0
// GFX13: v_alignbit_b32 v5, exec_lo, -1, m0      ; encoding: [0x05,0x00,0x16,0xd6,0x7e,0x82,0xf5,0x01]

v_alignbit_b32 v5, exec_hi, null, vcc_hi
// GFX13: v_alignbit_b32 v5, exec_hi, null, vcc_hi ; encoding: [0x05,0x00,0x16,0xd6,0x7f,0xf8,0xac,0x01]

v_alignbit_b32 v5, null, exec_lo, vcc_lo
// GFX13: v_alignbit_b32 v5, null, exec_lo, vcc_lo ; encoding: [0x05,0x00,0x16,0xd6,0x7c,0xfc,0xa8,0x01]

v_alignbit_b32 v5, -1, exec_hi, src_scc
// GFX13: v_alignbit_b32 v5, -1, exec_hi, src_scc ; encoding: [0x05,0x00,0x16,0xd6,0xc1,0xfe,0xf4,0x03]

v_alignbit_b32 v5, 0.5, m0, exec_hi
// GFX13: v_alignbit_b32 v5, 0.5, m0, exec_hi     ; encoding: [0x05,0x00,0x16,0xd6,0xf0,0xfa,0xfc,0x01]

v_alignbit_b32 v5, src_scc, vcc_lo, -1
// GFX13: v_alignbit_b32 v5, src_scc, vcc_lo, -1  ; encoding: [0x05,0x00,0x16,0xd6,0xfd,0xd4,0x04,0x03]

v_alignbit_b32 v255, 0xaf123456, vcc_hi, null
// GFX13: v_alignbit_b32 v255, 0xaf123456, vcc_hi, null ; encoding: [0xff,0x00,0x16,0xd6,0xff,0xd6,0xf0,0x01,0x56,0x34,0x12,0xaf]

v_alignbyte_b32 v5, v1, v2, s3
// GFX13: v_alignbyte_b32 v5, v1, v2, s3          ; encoding: [0x05,0x00,0x17,0xd6,0x01,0x05,0x0e,0x00]

v_alignbyte_b32 v5, v255, s2, s3
// GFX13: v_alignbyte_b32 v5, v255, s2, s3        ; encoding: [0x05,0x00,0x17,0xd6,0xff,0x05,0x0c,0x00]

v_alignbyte_b32 v5, s1, v255, s3
// GFX13: v_alignbyte_b32 v5, s1, v255, s3        ; encoding: [0x05,0x00,0x17,0xd6,0x01,0xfe,0x0f,0x00]

v_alignbyte_b32 v5, s105, s105, s105
// GFX13: v_alignbyte_b32 v5, s105, s105, s105    ; encoding: [0x05,0x00,0x17,0xd6,0x69,0xd2,0xa4,0x01]

v_alignbyte_b32 v5, vcc_lo, ttmp15, v3
// GFX13: v_alignbyte_b32 v5, vcc_lo, ttmp15, v3  ; encoding: [0x05,0x00,0x17,0xd6,0x6a,0xf6,0x0c,0x04]

v_alignbyte_b32 v5, vcc_hi, 0xaf123456, v255
// GFX13: v_alignbyte_b32 v5, vcc_hi, 0xaf123456, v255 ; encoding: [0x05,0x00,0x17,0xd6,0x6b,0xfe,0xfd,0x07,0x56,0x34,0x12,0xaf]

v_alignbyte_b32 v5, ttmp15, src_scc, ttmp15
// GFX13: v_alignbyte_b32 v5, ttmp15, src_scc, ttmp15 ; encoding: [0x05,0x00,0x17,0xd6,0x7b,0xfa,0xed,0x01]

v_alignbyte_b32 v5, m0, 0.5, exec_lo
// GFX13: v_alignbyte_b32 v5, m0, 0.5, exec_lo    ; encoding: [0x05,0x00,0x17,0xd6,0x7d,0xe0,0xf9,0x01]

v_alignbyte_b32 v5, exec_lo, -1, m0
// GFX13: v_alignbyte_b32 v5, exec_lo, -1, m0     ; encoding: [0x05,0x00,0x17,0xd6,0x7e,0x82,0xf5,0x01]

v_alignbyte_b32 v5, exec_hi, null, vcc_hi
// GFX13: v_alignbyte_b32 v5, exec_hi, null, vcc_hi ; encoding: [0x05,0x00,0x17,0xd6,0x7f,0xf8,0xac,0x01]

v_alignbyte_b32 v5, null, exec_lo, vcc_lo
// GFX13: v_alignbyte_b32 v5, null, exec_lo, vcc_lo ; encoding: [0x05,0x00,0x17,0xd6,0x7c,0xfc,0xa8,0x01]

v_alignbyte_b32 v5, -1, exec_hi, src_scc
// GFX13: v_alignbyte_b32 v5, -1, exec_hi, src_scc ; encoding: [0x05,0x00,0x17,0xd6,0xc1,0xfe,0xf4,0x03]

v_alignbyte_b32 v5, 0.5, m0, exec_hi
// GFX13: v_alignbyte_b32 v5, 0.5, m0, exec_hi    ; encoding: [0x05,0x00,0x17,0xd6,0xf0,0xfa,0xfc,0x01]

v_alignbyte_b32 v5, src_scc, vcc_lo, -1
// GFX13: v_alignbyte_b32 v5, src_scc, vcc_lo, -1 ; encoding: [0x05,0x00,0x17,0xd6,0xfd,0xd4,0x04,0x03]

v_alignbyte_b32 v255, 0xaf123456, vcc_hi, null
// GFX13: v_alignbyte_b32 v255, 0xaf123456, vcc_hi, null ; encoding: [0xff,0x00,0x17,0xd6,0xff,0xd6,0xf0,0x01,0x56,0x34,0x12,0xaf]

v_and_b16 v5, v1, v2
// GFX13: v_and_b16 v5, v1, v2                    ; encoding: [0x05,0x00,0x67,0xd7,0x01,0x05,0x02,0x02]

v_and_b16 v5, v255, v255
// GFX13: v_and_b16 v5, v255, v255                ; encoding: [0x05,0x00,0x67,0xd7,0xff,0xff,0x03,0x02]

v_and_b16 v5, s1, s2
// GFX13: v_and_b16 v5, s1, s2                    ; encoding: [0x05,0x00,0x67,0xd7,0x01,0x04,0x00,0x02]

v_and_b16 v5, s105, s105
// GFX13: v_and_b16 v5, s105, s105                ; encoding: [0x05,0x00,0x67,0xd7,0x69,0xd2,0x00,0x02]

v_and_b16 v5, vcc_lo, ttmp15
// GFX13: v_and_b16 v5, vcc_lo, ttmp15            ; encoding: [0x05,0x00,0x67,0xd7,0x6a,0xf6,0x00,0x02]

v_and_b16 v5, vcc_hi, 0xfe0b
// GFX13: v_and_b16 v5, vcc_hi, 0xfe0b            ; encoding: [0x05,0x00,0x67,0xd7,0x6b,0xfe,0x01,0x02,0x0b,0xfe,0x00,0x00]

v_and_b16 v5, ttmp15, src_scc
// GFX13: v_and_b16 v5, ttmp15, src_scc           ; encoding: [0x05,0x00,0x67,0xd7,0x7b,0xfa,0x01,0x02]

v_and_b16 v5, m0, 0.5
// GFX13: v_and_b16 v5, m0, 0.5                   ; encoding: [0x05,0x00,0x67,0xd7,0x7d,0xe0,0x01,0x02]

v_and_b16 v5, exec_lo, -1
// GFX13: v_and_b16 v5, exec_lo, -1               ; encoding: [0x05,0x00,0x67,0xd7,0x7e,0x82,0x01,0x02]

v_and_b16 v5, exec_hi, null
// GFX13: v_and_b16 v5, exec_hi, null             ; encoding: [0x05,0x00,0x67,0xd7,0x7f,0xf8,0x00,0x02]

v_and_b16 v5, null, exec_lo
// GFX13: v_and_b16 v5, null, exec_lo             ; encoding: [0x05,0x00,0x67,0xd7,0x7c,0xfc,0x00,0x02]

v_and_b16 v5, -1, exec_hi
// GFX13: v_and_b16 v5, -1, exec_hi               ; encoding: [0x05,0x00,0x67,0xd7,0xc1,0xfe,0x00,0x02]

v_and_b16 v5, 0.5, m0
// GFX13: v_and_b16 v5, 0.5, m0                   ; encoding: [0x05,0x00,0x67,0xd7,0xf0,0xfa,0x00,0x02]

v_and_b16 v5, src_scc, vcc_lo
// GFX13: v_and_b16 v5, src_scc, vcc_lo           ; encoding: [0x05,0x00,0x67,0xd7,0xfd,0xd4,0x00,0x02]

v_and_b16 v255, 0xfe0b, vcc_hi
// GFX13: v_and_b16 v255, 0xfe0b, vcc_hi          ; encoding: [0xff,0x00,0x67,0xd7,0xff,0xd6,0x00,0x02,0x0b,0xfe,0x00,0x00]

v_and_or_b32 v5, v1, v2, s3
// GFX13: v_and_or_b32 v5, v1, v2, s3             ; encoding: [0x05,0x00,0x71,0xd7,0x01,0x05,0x0e,0x00]

v_and_or_b32 v5, v255, s2, s105
// GFX13: v_and_or_b32 v5, v255, s2, s105         ; encoding: [0x05,0x00,0x71,0xd7,0xff,0x05,0xa4,0x01]

v_and_or_b32 v5, s1, v255, exec_hi
// GFX13: v_and_or_b32 v5, s1, v255, exec_hi      ; encoding: [0x05,0x00,0x71,0xd7,0x01,0xfe,0xff,0x01]

v_and_or_b32 v5, s105, s105, exec_lo
// GFX13: v_and_or_b32 v5, s105, s105, exec_lo    ; encoding: [0x05,0x00,0x71,0xd7,0x69,0xd2,0xf8,0x01]

v_and_or_b32 v5, vcc_lo, ttmp15, v3
// GFX13: v_and_or_b32 v5, vcc_lo, ttmp15, v3     ; encoding: [0x05,0x00,0x71,0xd7,0x6a,0xf6,0x0c,0x04]

v_and_or_b32 v5, vcc_hi, 0xaf123456, v255
// GFX13: v_and_or_b32 v5, vcc_hi, 0xaf123456, v255 ; encoding: [0x05,0x00,0x71,0xd7,0x6b,0xfe,0xfd,0x07,0x56,0x34,0x12,0xaf]

v_and_or_b32 v5, ttmp15, src_scc, ttmp15
// GFX13: v_and_or_b32 v5, ttmp15, src_scc, ttmp15 ; encoding: [0x05,0x00,0x71,0xd7,0x7b,0xfa,0xed,0x01]

v_and_or_b32 v5, m0, 0.5, m0
// GFX13: v_and_or_b32 v5, m0, 0.5, m0            ; encoding: [0x05,0x00,0x71,0xd7,0x7d,0xe0,0xf5,0x01]

v_and_or_b32 v5, exec_lo, -1, vcc_hi
// GFX13: v_and_or_b32 v5, exec_lo, -1, vcc_hi    ; encoding: [0x05,0x00,0x71,0xd7,0x7e,0x82,0xad,0x01]

v_and_or_b32 v5, exec_hi, null, vcc_lo
// GFX13: v_and_or_b32 v5, exec_hi, null, vcc_lo  ; encoding: [0x05,0x00,0x71,0xd7,0x7f,0xf8,0xa8,0x01]

v_and_or_b32 v5, null, exec_lo, 0xaf123456
// GFX13: v_and_or_b32 v5, null, exec_lo, 0xaf123456 ; encoding: [0x05,0x00,0x71,0xd7,0x7c,0xfc,0xfc,0x03,0x56,0x34,0x12,0xaf]

v_and_or_b32 v5, -1, exec_hi, src_scc
// GFX13: v_and_or_b32 v5, -1, exec_hi, src_scc   ; encoding: [0x05,0x00,0x71,0xd7,0xc1,0xfe,0xf4,0x03]

v_and_or_b32 v5, 0.5, m0, 0.5
// GFX13: v_and_or_b32 v5, 0.5, m0, 0.5           ; encoding: [0x05,0x00,0x71,0xd7,0xf0,0xfa,0xc0,0x03]

v_and_or_b32 v5, src_scc, vcc_lo, -1
// GFX13: v_and_or_b32 v5, src_scc, vcc_lo, -1    ; encoding: [0x05,0x00,0x71,0xd7,0xfd,0xd4,0x04,0x03]

v_and_or_b32 v255, 0xaf123456, vcc_hi, null
// GFX13: v_and_or_b32 v255, 0xaf123456, vcc_hi, null ; encoding: [0xff,0x00,0x71,0xd7,0xff,0xd6,0xf0,0x01,0x56,0x34,0x12,0xaf]

v_ashr_pk_i8_i32 v1, v2, v3, v4 op_sel:[0,0,0,1]
// GFX13: v_ashr_pk_i8_i32 v1, v2, v3, v4 op_sel:[0,0,0,1] ; encoding: [0x01,0x40,0x90,0xd6,0x02,0x07,0x12,0x04]

v_ashr_pk_i8_i32 v2, s4, 4, v2
// GFX13: v_ashr_pk_i8_i32 v2, s4, 4, v2          ; encoding: [0x02,0x00,0x90,0xd6,0x04,0x08,0x09,0x04]

v_ashr_pk_i8_i32 v2, s4, v7, v8
// GFX13: v_ashr_pk_i8_i32 v2, s4, v7, v8         ; encoding: [0x02,0x00,0x90,0xd6,0x04,0x0e,0x22,0x04]

v_ashr_pk_i8_i32 v2, v4, 0, 1
// GFX13: v_ashr_pk_i8_i32 v2, v4, 0, 1           ; encoding: [0x02,0x00,0x90,0xd6,0x04,0x01,0x05,0x02]

v_ashr_pk_i8_i32 v2, v4, 3, s2
// GFX13: v_ashr_pk_i8_i32 v2, v4, 3, s2          ; encoding: [0x02,0x00,0x90,0xd6,0x04,0x07,0x09,0x00]

v_ashr_pk_i8_i32 v2, v4, v7, 12345
// GFX13: v_ashr_pk_i8_i32 v2, v4, v7, 0x3039     ; encoding: [0x02,0x00,0x90,0xd6,0x04,0x0f,0xfe,0x03,0x39,0x30,0x00,0x00]

v_ashr_pk_u8_i32 v1, v2, v3, v4 op_sel:[0,0,0,1]
// GFX13: v_ashr_pk_u8_i32 v1, v2, v3, v4 op_sel:[0,0,0,1] ; encoding: [0x01,0x40,0x91,0xd6,0x02,0x07,0x12,0x04]

v_ashr_pk_u8_i32 v2, s4, 4, v2
// GFX13: v_ashr_pk_u8_i32 v2, s4, 4, v2          ; encoding: [0x02,0x00,0x91,0xd6,0x04,0x08,0x09,0x04]

v_ashr_pk_u8_i32 v2, s4, v7, v8
// GFX13: v_ashr_pk_u8_i32 v2, s4, v7, v8         ; encoding: [0x02,0x00,0x91,0xd6,0x04,0x0e,0x22,0x04]

v_ashr_pk_u8_i32 v2, v4, 0, 1
// GFX13: v_ashr_pk_u8_i32 v2, v4, 0, 1           ; encoding: [0x02,0x00,0x91,0xd6,0x04,0x01,0x05,0x02]

v_ashr_pk_u8_i32 v2, v4, 3, s2
// GFX13: v_ashr_pk_u8_i32 v2, v4, 3, s2          ; encoding: [0x02,0x00,0x91,0xd6,0x04,0x07,0x09,0x00]

v_ashr_pk_u8_i32 v2, v4, v7, 12345
// GFX13: v_ashr_pk_u8_i32 v2, v4, v7, 0x3039     ; encoding: [0x02,0x00,0x91,0xd6,0x04,0x0f,0xfe,0x03,0x39,0x30,0x00,0x00]

v_ashrrev_i16 v5, v1, v2
// GFX13: v_ashrrev_i16 v5, v1, v2                ; encoding: [0x05,0x00,0x08,0xd7,0x01,0x05,0x02,0x02]

v_ashrrev_i16 v5, v255, v255
// GFX13: v_ashrrev_i16 v5, v255, v255            ; encoding: [0x05,0x00,0x08,0xd7,0xff,0xff,0x03,0x02]

v_ashrrev_i16 v5, s1, s2
// GFX13: v_ashrrev_i16 v5, s1, s2                ; encoding: [0x05,0x00,0x08,0xd7,0x01,0x04,0x00,0x02]

v_ashrrev_i16 v5, s105, s105
// GFX13: v_ashrrev_i16 v5, s105, s105            ; encoding: [0x05,0x00,0x08,0xd7,0x69,0xd2,0x00,0x02]

v_ashrrev_i16 v5, vcc_lo, ttmp15
// GFX13: v_ashrrev_i16 v5, vcc_lo, ttmp15        ; encoding: [0x05,0x00,0x08,0xd7,0x6a,0xf6,0x00,0x02]

v_ashrrev_i16 v5, vcc_hi, 0xfe0b
// GFX13: v_ashrrev_i16 v5, vcc_hi, 0xfe0b        ; encoding: [0x05,0x00,0x08,0xd7,0x6b,0xfe,0x01,0x02,0x0b,0xfe,0x00,0x00]

v_ashrrev_i16 v5, ttmp15, src_scc
// GFX13: v_ashrrev_i16 v5, ttmp15, src_scc       ; encoding: [0x05,0x00,0x08,0xd7,0x7b,0xfa,0x01,0x02]

v_ashrrev_i16 v5, m0, 0.5
// GFX13: v_ashrrev_i16 v5, m0, 0.5               ; encoding: [0x05,0x00,0x08,0xd7,0x7d,0xe0,0x01,0x02]

v_ashrrev_i16 v5, exec_lo, -1
// GFX13: v_ashrrev_i16 v5, exec_lo, -1           ; encoding: [0x05,0x00,0x08,0xd7,0x7e,0x82,0x01,0x02]

v_ashrrev_i16 v5, exec_hi, null
// GFX13: v_ashrrev_i16 v5, exec_hi, null         ; encoding: [0x05,0x00,0x08,0xd7,0x7f,0xf8,0x00,0x02]

v_ashrrev_i16 v5, null, exec_lo
// GFX13: v_ashrrev_i16 v5, null, exec_lo         ; encoding: [0x05,0x00,0x08,0xd7,0x7c,0xfc,0x00,0x02]

v_ashrrev_i16 v5, -1, exec_hi
// GFX13: v_ashrrev_i16 v5, -1, exec_hi           ; encoding: [0x05,0x00,0x08,0xd7,0xc1,0xfe,0x00,0x02]

v_ashrrev_i16 v5, 0.5, m0
// GFX13: v_ashrrev_i16 v5, 0.5, m0               ; encoding: [0x05,0x00,0x08,0xd7,0xf0,0xfa,0x00,0x02]

v_ashrrev_i16 v5, src_scc, vcc_lo
// GFX13: v_ashrrev_i16 v5, src_scc, vcc_lo       ; encoding: [0x05,0x00,0x08,0xd7,0xfd,0xd4,0x00,0x02]

v_ashrrev_i16 v255, 0xfe0b, vcc_hi
// GFX13: v_ashrrev_i16 v255, 0xfe0b, vcc_hi      ; encoding: [0xff,0x00,0x08,0xd7,0xff,0xd6,0x00,0x02,0x0b,0xfe,0x00,0x00]

v_ashrrev_i64 v[5:6], v1, vcc
// GFX13: v_ashrrev_i64 v[5:6], v1, vcc           ; encoding: [0x05,0x00,0x01,0xd7,0x01,0xd5,0x00,0x02]

v_ashrrev_i64 v[5:6], v255, exec
// GFX13: v_ashrrev_i64 v[5:6], v255, exec        ; encoding: [0x05,0x00,0x01,0xd7,0xff,0xfd,0x00,0x02]

v_ashrrev_i64 v[5:6], exec_lo, v[2:3]
// GFX13: v_ashrrev_i64 v[5:6], exec_lo, v[2:3]   ; encoding: [0x05,0x00,0x01,0xd7,0x7e,0x04,0x02,0x02]

v_ashrrev_i64 v[5:6], exec_hi, v[254:255]
// GFX13: v_ashrrev_i64 v[5:6], exec_hi, v[254:255] ; encoding: [0x05,0x00,0x01,0xd7,0x7f,0xfc,0x03,0x02]

v_ashrrev_i64 v[5:6], null, null
// GFX13: v_ashrrev_i64 v[5:6], null, null        ; encoding: [0x05,0x00,0x01,0xd7,0x7c,0xf8,0x00,0x02]

v_ashrrev_i64 v[5:6], -1, -1
// GFX13: v_ashrrev_i64 v[5:6], -1, -1            ; encoding: [0x05,0x00,0x01,0xd7,0xc1,0x82,0x01,0x02]

v_ashrrev_i64 v[5:6], 0.5, 0xaf123456
// GFX13: v_ashrrev_i64 v[5:6], 0.5, 0xaf123456   ; encoding: [0x05,0x00,0x01,0xd7,0xf0,0xfe,0x01,0x02,0x56,0x34,0x12,0xaf]

v_ashrrev_i64 v[5:6], src_scc, src_scc
// GFX13: v_ashrrev_i64 v[5:6], src_scc, src_scc  ; encoding: [0x05,0x00,0x01,0xd7,0xfd,0xfa,0x01,0x02]

v_ashrrev_i64 v[254:255], 0xaf123456, 0.5
// GFX13: v_ashrrev_i64 v[254:255], 0xaf123456, 0.5 ; encoding: [0xfe,0x00,0x01,0xd7,0xff,0xe0,0x01,0x02,0x56,0x34,0x12,0xaf]

v_bcnt_u32_b32 v5, v1, v2
// GFX13: v_bcnt_u32_b32 v5, v1, v2               ; encoding: [0x05,0x00,0x64,0xd7,0x01,0x05,0x02,0x02]

v_bcnt_u32_b32 v5, v255, v255
// GFX13: v_bcnt_u32_b32 v5, v255, v255           ; encoding: [0x05,0x00,0x64,0xd7,0xff,0xff,0x03,0x02]

v_bcnt_u32_b32 v5, s1, s2
// GFX13: v_bcnt_u32_b32 v5, s1, s2               ; encoding: [0x05,0x00,0x64,0xd7,0x01,0x04,0x00,0x02]

v_bcnt_u32_b32 v5, s105, s105
// GFX13: v_bcnt_u32_b32 v5, s105, s105           ; encoding: [0x05,0x00,0x64,0xd7,0x69,0xd2,0x00,0x02]

v_bcnt_u32_b32 v5, vcc_lo, ttmp15
// GFX13: v_bcnt_u32_b32 v5, vcc_lo, ttmp15       ; encoding: [0x05,0x00,0x64,0xd7,0x6a,0xf6,0x00,0x02]

v_bcnt_u32_b32 v5, vcc_hi, 0xaf123456
// GFX13: v_bcnt_u32_b32 v5, vcc_hi, 0xaf123456   ; encoding: [0x05,0x00,0x64,0xd7,0x6b,0xfe,0x01,0x02,0x56,0x34,0x12,0xaf]

v_bcnt_u32_b32 v5, ttmp15, src_scc
// GFX13: v_bcnt_u32_b32 v5, ttmp15, src_scc      ; encoding: [0x05,0x00,0x64,0xd7,0x7b,0xfa,0x01,0x02]

v_bcnt_u32_b32 v5, m0, 0.5
// GFX13: v_bcnt_u32_b32 v5, m0, 0.5              ; encoding: [0x05,0x00,0x64,0xd7,0x7d,0xe0,0x01,0x02]

v_bcnt_u32_b32 v5, exec_lo, -1
// GFX13: v_bcnt_u32_b32 v5, exec_lo, -1          ; encoding: [0x05,0x00,0x64,0xd7,0x7e,0x82,0x01,0x02]

v_bcnt_u32_b32 v5, exec_hi, null
// GFX13: v_bcnt_u32_b32 v5, exec_hi, null        ; encoding: [0x05,0x00,0x64,0xd7,0x7f,0xf8,0x00,0x02]

v_bcnt_u32_b32 v5, null, exec_lo
// GFX13: v_bcnt_u32_b32 v5, null, exec_lo        ; encoding: [0x05,0x00,0x64,0xd7,0x7c,0xfc,0x00,0x02]

v_bcnt_u32_b32 v5, -1, exec_hi
// GFX13: v_bcnt_u32_b32 v5, -1, exec_hi          ; encoding: [0x05,0x00,0x64,0xd7,0xc1,0xfe,0x00,0x02]

v_bcnt_u32_b32 v5, 0.5, m0
// GFX13: v_bcnt_u32_b32 v5, 0.5, m0              ; encoding: [0x05,0x00,0x64,0xd7,0xf0,0xfa,0x00,0x02]

v_bcnt_u32_b32 v5, src_scc, vcc_lo
// GFX13: v_bcnt_u32_b32 v5, src_scc, vcc_lo      ; encoding: [0x05,0x00,0x64,0xd7,0xfd,0xd4,0x00,0x02]

v_bcnt_u32_b32 v255, 0xaf123456, vcc_hi
// GFX13: v_bcnt_u32_b32 v255, 0xaf123456, vcc_hi ; encoding: [0xff,0x00,0x64,0xd7,0xff,0xd6,0x00,0x02,0x56,0x34,0x12,0xaf]

v_bfe_i32 v5, v1, v2, s3
// GFX13: v_bfe_i32 v5, v1, v2, s3                ; encoding: [0x05,0x00,0x11,0xd6,0x01,0x05,0x0e,0x00]

v_bfe_i32 v5, v255, s2, s105
// GFX13: v_bfe_i32 v5, v255, s2, s105            ; encoding: [0x05,0x00,0x11,0xd6,0xff,0x05,0xa4,0x01]

v_bfe_i32 v5, s1, v255, exec_hi
// GFX13: v_bfe_i32 v5, s1, v255, exec_hi         ; encoding: [0x05,0x00,0x11,0xd6,0x01,0xfe,0xff,0x01]

v_bfe_i32 v5, s105, s105, exec_lo
// GFX13: v_bfe_i32 v5, s105, s105, exec_lo       ; encoding: [0x05,0x00,0x11,0xd6,0x69,0xd2,0xf8,0x01]

v_bfe_i32 v5, vcc_lo, ttmp15, v3
// GFX13: v_bfe_i32 v5, vcc_lo, ttmp15, v3        ; encoding: [0x05,0x00,0x11,0xd6,0x6a,0xf6,0x0c,0x04]

v_bfe_i32 v5, vcc_hi, 0xaf123456, v255
// GFX13: v_bfe_i32 v5, vcc_hi, 0xaf123456, v255  ; encoding: [0x05,0x00,0x11,0xd6,0x6b,0xfe,0xfd,0x07,0x56,0x34,0x12,0xaf]

v_bfe_i32 v5, ttmp15, src_scc, ttmp15
// GFX13: v_bfe_i32 v5, ttmp15, src_scc, ttmp15   ; encoding: [0x05,0x00,0x11,0xd6,0x7b,0xfa,0xed,0x01]

v_bfe_i32 v5, m0, 0.5, m0
// GFX13: v_bfe_i32 v5, m0, 0.5, m0               ; encoding: [0x05,0x00,0x11,0xd6,0x7d,0xe0,0xf5,0x01]

v_bfe_i32 v5, exec_lo, -1, vcc_hi
// GFX13: v_bfe_i32 v5, exec_lo, -1, vcc_hi       ; encoding: [0x05,0x00,0x11,0xd6,0x7e,0x82,0xad,0x01]

v_bfe_i32 v5, exec_hi, null, vcc_lo
// GFX13: v_bfe_i32 v5, exec_hi, null, vcc_lo     ; encoding: [0x05,0x00,0x11,0xd6,0x7f,0xf8,0xa8,0x01]

v_bfe_i32 v5, null, exec_lo, 0xaf123456
// GFX13: v_bfe_i32 v5, null, exec_lo, 0xaf123456 ; encoding: [0x05,0x00,0x11,0xd6,0x7c,0xfc,0xfc,0x03,0x56,0x34,0x12,0xaf]

v_bfe_i32 v5, -1, exec_hi, src_scc
// GFX13: v_bfe_i32 v5, -1, exec_hi, src_scc      ; encoding: [0x05,0x00,0x11,0xd6,0xc1,0xfe,0xf4,0x03]

v_bfe_i32 v5, 0.5, m0, 0.5
// GFX13: v_bfe_i32 v5, 0.5, m0, 0.5              ; encoding: [0x05,0x00,0x11,0xd6,0xf0,0xfa,0xc0,0x03]

v_bfe_i32 v5, src_scc, vcc_lo, -1
// GFX13: v_bfe_i32 v5, src_scc, vcc_lo, -1       ; encoding: [0x05,0x00,0x11,0xd6,0xfd,0xd4,0x04,0x03]

v_bfe_i32 v255, 0xaf123456, vcc_hi, null
// GFX13: v_bfe_i32 v255, 0xaf123456, vcc_hi, null ; encoding: [0xff,0x00,0x11,0xd6,0xff,0xd6,0xf0,0x01,0x56,0x34,0x12,0xaf]

v_bfe_u32 v5, v1, v2, s3
// GFX13: v_bfe_u32 v5, v1, v2, s3                ; encoding: [0x05,0x00,0x10,0xd6,0x01,0x05,0x0e,0x00]

v_bfe_u32 v5, v255, s2, s105
// GFX13: v_bfe_u32 v5, v255, s2, s105            ; encoding: [0x05,0x00,0x10,0xd6,0xff,0x05,0xa4,0x01]

v_bfe_u32 v5, s1, v255, exec_hi
// GFX13: v_bfe_u32 v5, s1, v255, exec_hi         ; encoding: [0x05,0x00,0x10,0xd6,0x01,0xfe,0xff,0x01]

v_bfe_u32 v5, s105, s105, exec_lo
// GFX13: v_bfe_u32 v5, s105, s105, exec_lo       ; encoding: [0x05,0x00,0x10,0xd6,0x69,0xd2,0xf8,0x01]

v_bfe_u32 v5, vcc_lo, ttmp15, v3
// GFX13: v_bfe_u32 v5, vcc_lo, ttmp15, v3        ; encoding: [0x05,0x00,0x10,0xd6,0x6a,0xf6,0x0c,0x04]

v_bfe_u32 v5, vcc_hi, 0xaf123456, v255
// GFX13: v_bfe_u32 v5, vcc_hi, 0xaf123456, v255  ; encoding: [0x05,0x00,0x10,0xd6,0x6b,0xfe,0xfd,0x07,0x56,0x34,0x12,0xaf]

v_bfe_u32 v5, ttmp15, src_scc, ttmp15
// GFX13: v_bfe_u32 v5, ttmp15, src_scc, ttmp15   ; encoding: [0x05,0x00,0x10,0xd6,0x7b,0xfa,0xed,0x01]

v_bfe_u32 v5, m0, 0.5, m0
// GFX13: v_bfe_u32 v5, m0, 0.5, m0               ; encoding: [0x05,0x00,0x10,0xd6,0x7d,0xe0,0xf5,0x01]

v_bfe_u32 v5, exec_lo, -1, vcc_hi
// GFX13: v_bfe_u32 v5, exec_lo, -1, vcc_hi       ; encoding: [0x05,0x00,0x10,0xd6,0x7e,0x82,0xad,0x01]

v_bfe_u32 v5, exec_hi, null, vcc_lo
// GFX13: v_bfe_u32 v5, exec_hi, null, vcc_lo     ; encoding: [0x05,0x00,0x10,0xd6,0x7f,0xf8,0xa8,0x01]

v_bfe_u32 v5, null, exec_lo, 0xaf123456
// GFX13: v_bfe_u32 v5, null, exec_lo, 0xaf123456 ; encoding: [0x05,0x00,0x10,0xd6,0x7c,0xfc,0xfc,0x03,0x56,0x34,0x12,0xaf]

v_bfe_u32 v5, -1, exec_hi, src_scc
// GFX13: v_bfe_u32 v5, -1, exec_hi, src_scc      ; encoding: [0x05,0x00,0x10,0xd6,0xc1,0xfe,0xf4,0x03]

v_bfe_u32 v5, 0.5, m0, 0.5
// GFX13: v_bfe_u32 v5, 0.5, m0, 0.5              ; encoding: [0x05,0x00,0x10,0xd6,0xf0,0xfa,0xc0,0x03]

v_bfe_u32 v5, src_scc, vcc_lo, -1
// GFX13: v_bfe_u32 v5, src_scc, vcc_lo, -1       ; encoding: [0x05,0x00,0x10,0xd6,0xfd,0xd4,0x04,0x03]

v_bfe_u32 v255, 0xaf123456, vcc_hi, null
// GFX13: v_bfe_u32 v255, 0xaf123456, vcc_hi, null ; encoding: [0xff,0x00,0x10,0xd6,0xff,0xd6,0xf0,0x01,0x56,0x34,0x12,0xaf]

v_bfi_b32 v5, v1, v2, s3
// GFX13: v_bfi_b32 v5, v1, v2, s3                ; encoding: [0x05,0x00,0x12,0xd6,0x01,0x05,0x0e,0x00]

v_bfi_b32 v5, v255, s2, s105
// GFX13: v_bfi_b32 v5, v255, s2, s105            ; encoding: [0x05,0x00,0x12,0xd6,0xff,0x05,0xa4,0x01]

v_bfi_b32 v5, s1, v255, exec_hi
// GFX13: v_bfi_b32 v5, s1, v255, exec_hi         ; encoding: [0x05,0x00,0x12,0xd6,0x01,0xfe,0xff,0x01]

v_bfi_b32 v5, s105, s105, exec_lo
// GFX13: v_bfi_b32 v5, s105, s105, exec_lo       ; encoding: [0x05,0x00,0x12,0xd6,0x69,0xd2,0xf8,0x01]

v_bfi_b32 v5, vcc_lo, ttmp15, v3
// GFX13: v_bfi_b32 v5, vcc_lo, ttmp15, v3        ; encoding: [0x05,0x00,0x12,0xd6,0x6a,0xf6,0x0c,0x04]

v_bfi_b32 v5, vcc_hi, 0xaf123456, v255
// GFX13: v_bfi_b32 v5, vcc_hi, 0xaf123456, v255  ; encoding: [0x05,0x00,0x12,0xd6,0x6b,0xfe,0xfd,0x07,0x56,0x34,0x12,0xaf]

v_bfi_b32 v5, ttmp15, src_scc, ttmp15
// GFX13: v_bfi_b32 v5, ttmp15, src_scc, ttmp15   ; encoding: [0x05,0x00,0x12,0xd6,0x7b,0xfa,0xed,0x01]

v_bfi_b32 v5, m0, 0.5, m0
// GFX13: v_bfi_b32 v5, m0, 0.5, m0               ; encoding: [0x05,0x00,0x12,0xd6,0x7d,0xe0,0xf5,0x01]

v_bfi_b32 v5, exec_lo, -1, vcc_hi
// GFX13: v_bfi_b32 v5, exec_lo, -1, vcc_hi       ; encoding: [0x05,0x00,0x12,0xd6,0x7e,0x82,0xad,0x01]

v_bfi_b32 v5, exec_hi, null, vcc_lo
// GFX13: v_bfi_b32 v5, exec_hi, null, vcc_lo     ; encoding: [0x05,0x00,0x12,0xd6,0x7f,0xf8,0xa8,0x01]

v_bfi_b32 v5, null, exec_lo, 0xaf123456
// GFX13: v_bfi_b32 v5, null, exec_lo, 0xaf123456 ; encoding: [0x05,0x00,0x12,0xd6,0x7c,0xfc,0xfc,0x03,0x56,0x34,0x12,0xaf]

v_bfi_b32 v5, -1, exec_hi, src_scc
// GFX13: v_bfi_b32 v5, -1, exec_hi, src_scc      ; encoding: [0x05,0x00,0x12,0xd6,0xc1,0xfe,0xf4,0x03]

v_bfi_b32 v5, 0.5, m0, 0.5
// GFX13: v_bfi_b32 v5, 0.5, m0, 0.5              ; encoding: [0x05,0x00,0x12,0xd6,0xf0,0xfa,0xc0,0x03]

v_bfi_b32 v5, src_scc, vcc_lo, -1
// GFX13: v_bfi_b32 v5, src_scc, vcc_lo, -1       ; encoding: [0x05,0x00,0x12,0xd6,0xfd,0xd4,0x04,0x03]

v_bfi_b32 v255, 0xaf123456, vcc_hi, null
// GFX13: v_bfi_b32 v255, 0xaf123456, vcc_hi, null ; encoding: [0xff,0x00,0x12,0xd6,0xff,0xd6,0xf0,0x01,0x56,0x34,0x12,0xaf]

v_bfm_b32 v5, v1, v2
// GFX13: v_bfm_b32 v5, v1, v2                    ; encoding: [0x05,0x00,0x1d,0xd7,0x01,0x05,0x02,0x02]

v_bfm_b32 v5, v255, v255
// GFX13: v_bfm_b32 v5, v255, v255                ; encoding: [0x05,0x00,0x1d,0xd7,0xff,0xff,0x03,0x02]

v_bfm_b32 v5, s1, s2
// GFX13: v_bfm_b32 v5, s1, s2                    ; encoding: [0x05,0x00,0x1d,0xd7,0x01,0x04,0x00,0x02]

v_bfm_b32 v5, s105, s105
// GFX13: v_bfm_b32 v5, s105, s105                ; encoding: [0x05,0x00,0x1d,0xd7,0x69,0xd2,0x00,0x02]

v_bfm_b32 v5, vcc_lo, ttmp15
// GFX13: v_bfm_b32 v5, vcc_lo, ttmp15            ; encoding: [0x05,0x00,0x1d,0xd7,0x6a,0xf6,0x00,0x02]

v_bfm_b32 v5, vcc_hi, 0xaf123456
// GFX13: v_bfm_b32 v5, vcc_hi, 0xaf123456        ; encoding: [0x05,0x00,0x1d,0xd7,0x6b,0xfe,0x01,0x02,0x56,0x34,0x12,0xaf]

v_bfm_b32 v5, ttmp15, src_scc
// GFX13: v_bfm_b32 v5, ttmp15, src_scc           ; encoding: [0x05,0x00,0x1d,0xd7,0x7b,0xfa,0x01,0x02]

v_bfm_b32 v5, m0, 0.5
// GFX13: v_bfm_b32 v5, m0, 0.5                   ; encoding: [0x05,0x00,0x1d,0xd7,0x7d,0xe0,0x01,0x02]

v_bfm_b32 v5, exec_lo, -1
// GFX13: v_bfm_b32 v5, exec_lo, -1               ; encoding: [0x05,0x00,0x1d,0xd7,0x7e,0x82,0x01,0x02]

v_bfm_b32 v5, exec_hi, null
// GFX13: v_bfm_b32 v5, exec_hi, null             ; encoding: [0x05,0x00,0x1d,0xd7,0x7f,0xf8,0x00,0x02]

v_bfm_b32 v5, null, exec_lo
// GFX13: v_bfm_b32 v5, null, exec_lo             ; encoding: [0x05,0x00,0x1d,0xd7,0x7c,0xfc,0x00,0x02]

v_bfm_b32 v5, -1, exec_hi
// GFX13: v_bfm_b32 v5, -1, exec_hi               ; encoding: [0x05,0x00,0x1d,0xd7,0xc1,0xfe,0x00,0x02]

v_bfm_b32 v5, 0.5, m0
// GFX13: v_bfm_b32 v5, 0.5, m0                   ; encoding: [0x05,0x00,0x1d,0xd7,0xf0,0xfa,0x00,0x02]

v_bfm_b32 v5, src_scc, vcc_lo
// GFX13: v_bfm_b32 v5, src_scc, vcc_lo           ; encoding: [0x05,0x00,0x1d,0xd7,0xfd,0xd4,0x00,0x02]

v_bfm_b32 v255, 0xaf123456, vcc_hi
// GFX13: v_bfm_b32 v255, 0xaf123456, vcc_hi      ; encoding: [0xff,0x00,0x1d,0xd7,0xff,0xd6,0x00,0x02,0x56,0x34,0x12,0xaf]

v_bitop3_b16 v255, 0xfe0b, vcc_hi, null bitop3:103 op_sel:[0,0,0,1]
// GFX13: v_bitop3_b16 v255, 0xfe0b, vcc_hi, null bitop3:0x67 op_sel:[0,0,0,1] ; encoding: [0xff,0x44,0x33,0xd6,0xff,0xd6,0xf0,0xe9,0x0b,0xfe,0x00,0x00]

v_bitop3_b16 v5, -1, exec_hi, src_scc bitop3:99 op_sel:[1,0,0,0]
// GFX13: v_bitop3_b16 v5, -1, exec_hi, src_scc bitop3:0x63 op_sel:[1,0,0,0] ; encoding: [0x05,0x0c,0x33,0xd6,0xc1,0xfe,0xf4,0x6b]

v_bitop3_b16 v5, 0.5, m0, 0.5 bitop3:101 op_sel:[0,1,0,0]
// GFX13: v_bitop3_b16 v5, 0.5, m0, 0.5 bitop3:0x65 op_sel:[0,1,0,0] ; encoding: [0x05,0x14,0x33,0xd6,0xf0,0xfa,0xc0,0xab]

v_bitop3_b16 v5, exec_hi, null, vcc_lo bitop3:0x77 op_sel:[1,1,1,1]
// GFX13: v_bitop3_b16 v5, exec_hi, null, vcc_lo bitop3:0x77 op_sel:[1,1,1,1] ; encoding: [0x05,0x7e,0x33,0xd6,0x7f,0xf8,0xa8,0xe9]

v_bitop3_b16 v5, exec_hi, null, vcc_lo op_sel:[1,1,1,1]
// GFX13: v_bitop3_b16 v5, exec_hi, null, vcc_lo op_sel:[1,1,1,1] ; encoding: [0x05,0x78,0x33,0xd6,0x7f,0xf8,0xa8,0x01]

v_bitop3_b16 v5, exec_lo, -1, vcc_hi bitop3:6
// GFX13: v_bitop3_b16 v5, exec_lo, -1, vcc_hi bitop3:6 ; encoding: [0x05,0x00,0x33,0xd6,0x7e,0x82,0xad,0xc1]

v_bitop3_b16 v5, m0, 0.5, m0 bitop3:5
// GFX13: v_bitop3_b16 v5, m0, 0.5, m0 bitop3:5   ; encoding: [0x05,0x00,0x33,0xd6,0x7d,0xe0,0xf5,0xa1]

v_bitop3_b16 v5, null, exec_lo, 0xfe0b bitop3:0x88 op_sel:[0,0,0,0]
// GFX13: v_bitop3_b16 v5, null, exec_lo, 0xfe0b bitop3:0x88 ; encoding: [0x05,0x01,0x33,0xd6,0x7c,0xfc,0xfc,0x13,0x0b,0xfe,0x00,0x00]

v_bitop3_b16 v5, s1, v255, exec_hi bitop3:100
// GFX13: v_bitop3_b16 v5, s1, v255, exec_hi bitop3:0x64 ; encoding: [0x05,0x04,0x33,0xd6,0x01,0xfe,0xff,0x89]

v_bitop3_b16 v5, s105, s105, exec_lo bitop3:0
// GFX13: v_bitop3_b16 v5, s105, s105, exec_lo    ; encoding: [0x05,0x00,0x33,0xd6,0x69,0xd2,0xf8,0x01]

v_bitop3_b16 v5, src_scc, vcc_lo, -1 bitop3:102 op_sel:[0,0,1,0]
// GFX13: v_bitop3_b16 v5, src_scc, vcc_lo, -1 bitop3:0x66 op_sel:[0,0,1,0] ; encoding: [0x05,0x24,0x33,0xd6,0xfd,0xd4,0x04,0xcb]

v_bitop3_b16 v5, ttmp15, src_scc, ttmp15 bitop3:0x24
// GFX13: v_bitop3_b16 v5, ttmp15, src_scc, ttmp15 bitop3:0x24 ; encoding: [0x05,0x04,0x33,0xd6,0x7b,0xfa,0xed,0x81]

v_bitop3_b16 v5, v1, v2, s3
// GFX13: v_bitop3_b16 v5, v1, v2, s3             ; encoding: [0x05,0x00,0x33,0xd6,0x01,0x05,0x0e,0x00]

v_bitop3_b16 v5, v1, v2, s3 bitop3:161
// GFX13: v_bitop3_b16 v5, v1, v2, s3 bitop3:0xa1 ; encoding: [0x05,0x04,0x33,0xd6,0x01,0x05,0x0e,0x30]

v_bitop3_b16 v5, v255, s2, s105 bitop3:0x27
// GFX13: v_bitop3_b16 v5, v255, s2, s105 bitop3:0x27 ; encoding: [0x05,0x04,0x33,0xd6,0xff,0x05,0xa4,0xe1]

v_bitop3_b16 v5, vcc_hi, 0xfe0b, v255 bitop3:63
// GFX13: v_bitop3_b16 v5, vcc_hi, 0xfe0b, v255 bitop3:0x3f ; encoding: [0x05,0x07,0x33,0xd6,0x6b,0xfe,0xfd,0xe7,0x0b,0xfe,0x00,0x00]

v_bitop3_b16 v5, vcc_lo, ttmp15, v3 bitop3:0x15
// GFX13: v_bitop3_b16 v5, vcc_lo, ttmp15, v3 bitop3:0x15 ; encoding: [0x05,0x02,0x33,0xd6,0x6a,0xf6,0x0c,0xa4]

v_bitop3_b32 v255, 0xaf123456, vcc_hi, null bitop3:103
// GFX13: v_bitop3_b32 v255, 0xaf123456, vcc_hi, null bitop3:0x67 ; encoding: [0xff,0x04,0x34,0xd6,0xff,0xd6,0xf0,0xe9,0x56,0x34,0x12,0xaf]

v_bitop3_b32 v5, -1, exec_hi, src_scc bitop3:99
// GFX13: v_bitop3_b32 v5, -1, exec_hi, src_scc bitop3:0x63 ; encoding: [0x05,0x04,0x34,0xd6,0xc1,0xfe,0xf4,0x6b]

v_bitop3_b32 v5, 0.5, m0, 0.5 bitop3:101
// GFX13: v_bitop3_b32 v5, 0.5, m0, 0.5 bitop3:0x65 ; encoding: [0x05,0x04,0x34,0xd6,0xf0,0xfa,0xc0,0xab]

v_bitop3_b32 v5, exec_hi, null, vcc_lo bitop3:77
// GFX13: v_bitop3_b32 v5, exec_hi, null, vcc_lo bitop3:0x4d ; encoding: [0x05,0x01,0x34,0xd6,0x7f,0xf8,0xa8,0xa9]

v_bitop3_b32 v5, exec_lo, -1, vcc_hi bitop3:6
// GFX13: v_bitop3_b32 v5, exec_lo, -1, vcc_hi bitop3:6 ; encoding: [0x05,0x00,0x34,0xd6,0x7e,0x82,0xad,0xc1]

v_bitop3_b32 v5, m0, 0.5, m0 bitop3:5
// GFX13: v_bitop3_b32 v5, m0, 0.5, m0 bitop3:5   ; encoding: [0x05,0x00,0x34,0xd6,0x7d,0xe0,0xf5,0xa1]

v_bitop3_b32 v5, null, exec_lo, 0xaf123456 bitop3:88
// GFX13: v_bitop3_b32 v5, null, exec_lo, 0xaf123456 bitop3:0x58 ; encoding: [0x05,0x03,0x34,0xd6,0x7c,0xfc,0xfc,0x0b,0x56,0x34,0x12,0xaf]

v_bitop3_b32 v5, s1, v255, exec_hi bitop3:100
// GFX13: v_bitop3_b32 v5, s1, v255, exec_hi bitop3:0x64 ; encoding: [0x05,0x04,0x34,0xd6,0x01,0xfe,0xff,0x89]

v_bitop3_b32 v5, s105, s105, exec_lo bitop3:0
// GFX13: v_bitop3_b32 v5, s105, s105, exec_lo    ; encoding: [0x05,0x00,0x34,0xd6,0x69,0xd2,0xf8,0x01]

v_bitop3_b32 v5, src_scc, vcc_lo, -1 bitop3:102
// GFX13: v_bitop3_b32 v5, src_scc, vcc_lo, -1 bitop3:0x66 ; encoding: [0x05,0x04,0x34,0xd6,0xfd,0xd4,0x04,0xcb]

v_bitop3_b32 v5, ttmp15, src_scc, ttmp15 bitop3:0x24
// GFX13: v_bitop3_b32 v5, ttmp15, src_scc, ttmp15 bitop3:0x24 ; encoding: [0x05,0x04,0x34,0xd6,0x7b,0xfa,0xed,0x81]

v_bitop3_b32 v5, v1, v2, s3
// GFX13: v_bitop3_b32 v5, v1, v2, s3             ; encoding: [0x05,0x00,0x34,0xd6,0x01,0x05,0x0e,0x00]

v_bitop3_b32 v5, v1, v2, s3 bitop3:161
// GFX13: v_bitop3_b32 v5, v1, v2, s3 bitop3:0xa1 ; encoding: [0x05,0x04,0x34,0xd6,0x01,0x05,0x0e,0x30]

v_bitop3_b32 v5, v255, s2, s105 bitop3:0x27
// GFX13: v_bitop3_b32 v5, v255, s2, s105 bitop3:0x27 ; encoding: [0x05,0x04,0x34,0xd6,0xff,0x05,0xa4,0xe1]

v_bitop3_b32 v5, vcc_hi, 0xaf123456, v255 bitop3:63
// GFX13: v_bitop3_b32 v5, vcc_hi, 0xaf123456, v255 bitop3:0x3f ; encoding: [0x05,0x07,0x34,0xd6,0x6b,0xfe,0xfd,0xe7,0x56,0x34,0x12,0xaf]

v_bitop3_b32 v5, vcc_lo, ttmp15, v3 bitop3:0x15
// GFX13: v_bitop3_b32 v5, vcc_lo, ttmp15, v3 bitop3:0x15 ; encoding: [0x05,0x02,0x34,0xd6,0x6a,0xf6,0x0c,0xa4]

v_cndmask_b16 v5, v1, src_scc, s3
// W32: v_cndmask_b16 v5, v1, src_scc, s3       ; encoding: [0x05,0x00,0x5d,0xd6,0x01,0xfb,0x0d,0x00]
// W64-ERR: :[[@LINE-2]]:32: error: invalid operand for instruction

v_cndmask_b16 v5, v255, 0.5, s3
// W32: v_cndmask_b16 v5, v255, 0.5, s3         ; encoding: [0x05,0x00,0x5d,0xd6,0xff,0xe1,0x0d,0x00]
// W64-ERR: :[[@LINE-2]]:30: error: invalid operand for instruction

v_cndmask_b16 v5, s105, s105, s3
// W32: v_cndmask_b16 v5, s105, s105, s3        ; encoding: [0x05,0x00,0x5d,0xd6,0x69,0xd2,0x0c,0x00]
// W64-ERR: :[[@LINE-2]]:19: error: invalid operand for instruction

v_cndmask_b16 v5, vcc_hi, v2, s3
// W32: v_cndmask_b16 v5, vcc_hi, v2, s3        ; encoding: [0x05,0x00,0x5d,0xd6,0x6b,0x04,0x0e,0x00]
// W64-ERR: :[[@LINE-2]]:19: error: invalid operand for instruction

v_cndmask_b16 v5, ttmp15, ttmp15, s3
// W32: v_cndmask_b16 v5, ttmp15, ttmp15, s3    ; encoding: [0x05,0x00,0x5d,0xd6,0x7b,0xf6,0x0c,0x00]
// W64-ERR: :[[@LINE-2]]:19: error: invalid operand for instruction

v_cndmask_b16 v5, m0, v255, s3
// W32: v_cndmask_b16 v5, m0, v255, s3          ; encoding: [0x05,0x00,0x5d,0xd6,0x7d,0xfe,0x0f,0x00]
// W64-ERR: :[[@LINE-2]]:19: error: invalid operand for instruction

v_cndmask_b16 v5, exec_lo, exec_lo, s3
// W32: v_cndmask_b16 v5, exec_lo, exec_lo, s3  ; encoding: [0x05,0x00,0x5d,0xd6,0x7e,0xfc,0x0c,0x00]
// W64-ERR: :[[@LINE-2]]:19: error: invalid operand for instruction

v_cndmask_b16 v5, exec_hi, exec_hi, s3
// W32: v_cndmask_b16 v5, exec_hi, exec_hi, s3  ; encoding: [0x05,0x00,0x5d,0xd6,0x7f,0xfe,0x0c,0x00]
// W64-ERR: :[[@LINE-2]]:19: error: invalid operand for instruction

v_cndmask_b16 v5, null, m0, s105
// W32: v_cndmask_b16 v5, null, m0, s105        ; encoding: [0x05,0x00,0x5d,0xd6,0x7c,0xfa,0xa4,0x01]
// W64-ERR: :[[@LINE-2]]:19: error: invalid operand for instruction

v_cndmask_b16 v5, -1, -|vcc_lo|, vcc_lo
// W32: v_cndmask_b16 v5, -1, -|vcc_lo|, vcc_lo ; encoding: [0x05,0x02,0x5d,0xd6,0xc1,0xd4,0xa8,0x41]
// W64-ERR: :[[@LINE-2]]:19: error: invalid operand for instruction

v_cndmask_b16 v5, 0.5, -1, vcc_hi
// W32: v_cndmask_b16 v5, 0.5, -1, vcc_hi       ; encoding: [0x05,0x00,0x5d,0xd6,0xf0,0x82,0xad,0x01]
// W64-ERR: :[[@LINE-2]]:19: error: invalid operand for instruction

v_cndmask_b16 v5, -|src_scc|, null, ttmp15
// W32: v_cndmask_b16 v5, -|src_scc|, null, ttmp15 ; encoding: [0x05,0x01,0x5d,0xd6,0xfd,0xf8,0xec,0x21]
// W64-ERR: :[[@LINE-2]]:21: error: invalid operand for instruction

v_cndmask_b16 v5, v1, src_scc, s[6:7]
// W32-ERR: :[[@LINE-1]]:32: error: invalid operand for instruction
// W64: v_cndmask_b16 v5, v1, src_scc, s[6:7]   ; encoding: [0x05,0x00,0x5d,0xd6,0x01,0xfb,0x19,0x00]

v_cndmask_b16 v5, v255, 0.5, s[6:7]
// W32-ERR: :[[@LINE-1]]:30: error: invalid operand for instruction
// W64: v_cndmask_b16 v5, v255, 0.5, s[6:7]     ; encoding: [0x05,0x00,0x5d,0xd6,0xff,0xe1,0x19,0x00]

v_cndmask_b16 v5, s105, s105, s[6:7]
// W32-ERR: :[[@LINE-1]]:19: error: invalid operand for instruction
// W64: v_cndmask_b16 v5, s105, s105, s[6:7]    ; encoding: [0x05,0x00,0x5d,0xd6,0x69,0xd2,0x18,0x00]

v_cndmask_b16 v5, vcc_hi, v2, s[6:7]
// W32-ERR: :[[@LINE-1]]:19: error: invalid operand for instruction
// W64: v_cndmask_b16 v5, vcc_hi, v2, s[6:7]    ; encoding: [0x05,0x00,0x5d,0xd6,0x6b,0x04,0x1a,0x00]

v_cndmask_b16 v5, ttmp15, ttmp15, s[6:7]
// W32-ERR: :[[@LINE-1]]:19: error: invalid operand for instruction
// W64: v_cndmask_b16 v5, ttmp15, ttmp15, s[6:7] ; encoding: [0x05,0x00,0x5d,0xd6,0x7b,0xf6,0x18,0x00]

v_cndmask_b16 v5, m0, v255, s[6:7]
// W32-ERR: :[[@LINE-1]]:19: error: invalid operand for instruction
// W64: v_cndmask_b16 v5, m0, v255, s[6:7]      ; encoding: [0x05,0x00,0x5d,0xd6,0x7d,0xfe,0x1b,0x00]

v_cndmask_b16 v5, exec_lo, exec_lo, s[6:7]
// W32-ERR: :[[@LINE-1]]:19: error: invalid operand for instruction
// W64: v_cndmask_b16 v5, exec_lo, exec_lo, s[6:7] ; encoding: [0x05,0x00,0x5d,0xd6,0x7e,0xfc,0x18,0x00]

v_cndmask_b16 v5, exec_hi, exec_hi, s[6:7]
// W32-ERR: :[[@LINE-1]]:19: error: invalid operand for instruction
// W64: v_cndmask_b16 v5, exec_hi, exec_hi, s[6:7] ; encoding: [0x05,0x00,0x5d,0xd6,0x7f,0xfe,0x18,0x00]

v_cndmask_b16 v5, null, m0, s[6:7]
// W32-ERR: :[[@LINE-1]]:19: error: invalid operand for instruction
// W64: v_cndmask_b16 v5, null, m0, s[6:7]      ; encoding: [0x05,0x00,0x5d,0xd6,0x7c,0xfa,0x18,0x00]

v_cndmask_b16 v5, -1, -|vcc_lo|, s[104:105]
// W32-ERR: :[[@LINE-1]]:19: error: invalid operand for instruction
// W64: v_cndmask_b16 v5, -1, -|vcc_lo|, s[104:105] ; encoding: [0x05,0x02,0x5d,0xd6,0xc1,0xd4,0xa0,0x41]

v_cndmask_b16 v5, 0.5, -1, vcc
// W32-ERR: :[[@LINE-1]]:19: error: invalid operand for instruction
// W64: v_cndmask_b16 v5, 0.5, -1, vcc          ; encoding: [0x05,0x00,0x5d,0xd6,0xf0,0x82,0xa9,0x01]

v_cndmask_b16 v5, -|src_scc|, null, ttmp[14:15]
// W32-ERR: :[[@LINE-1]]:21: error: invalid operand for instruction
// W64: v_cndmask_b16 v5, -|src_scc|, null, ttmp[14:15] ; encoding: [0x05,0x01,0x5d,0xd6,0xfd,0xf8,0xe8,0x21]

v_cndmask_b16 v255, -|0xfe0b|, -|vcc_hi|, null
// GFX13: v_cndmask_b16 v255, -|0xfe0b|, -|vcc_hi|, null ; encoding: [0xff,0x03,0x5d,0xd6,0xff,0xd6,0xf0,0x61,0x0b,0xfe,0x00,0x00]

v_cubeid_f32 v5, v1, v2, s3
// GFX13: v_cubeid_f32 v5, v1, v2, s3             ; encoding: [0x05,0x00,0x0c,0xd6,0x01,0x05,0x0e,0x00]

v_cubeid_f32 v5, v255, s2, s105
// GFX13: v_cubeid_f32 v5, v255, s2, s105         ; encoding: [0x05,0x00,0x0c,0xd6,0xff,0x05,0xa4,0x01]

v_cubeid_f32 v5, s1, v255, exec_hi
// GFX13: v_cubeid_f32 v5, s1, v255, exec_hi      ; encoding: [0x05,0x00,0x0c,0xd6,0x01,0xfe,0xff,0x01]

v_cubeid_f32 v5, s105, s105, exec_lo
// GFX13: v_cubeid_f32 v5, s105, s105, exec_lo    ; encoding: [0x05,0x00,0x0c,0xd6,0x69,0xd2,0xf8,0x01]

v_cubeid_f32 v5, vcc_lo, ttmp15, v3
// GFX13: v_cubeid_f32 v5, vcc_lo, ttmp15, v3     ; encoding: [0x05,0x00,0x0c,0xd6,0x6a,0xf6,0x0c,0x04]

v_cubeid_f32 v5, vcc_hi, 0xaf123456, v255
// GFX13: v_cubeid_f32 v5, vcc_hi, 0xaf123456, v255 ; encoding: [0x05,0x00,0x0c,0xd6,0x6b,0xfe,0xfd,0x07,0x56,0x34,0x12,0xaf]

v_cubeid_f32 v5, -|ttmp15|, -|src_scc|, -|ttmp15|
// GFX13: v_cubeid_f32 v5, -|ttmp15|, -|src_scc|, -|ttmp15| ; encoding: [0x05,0x07,0x0c,0xd6,0x7b,0xfa,0xed,0xe1]

v_cubeid_f32 v5, m0, 0.5, m0
// GFX13: v_cubeid_f32 v5, m0, 0.5, m0            ; encoding: [0x05,0x00,0x0c,0xd6,0x7d,0xe0,0xf5,0x01]

v_cubeid_f32 v5, |exec_lo|, -1, vcc_hi
// GFX13: v_cubeid_f32 v5, |exec_lo|, -1, vcc_hi  ; encoding: [0x05,0x01,0x0c,0xd6,0x7e,0x82,0xad,0x01]

v_cubeid_f32 v5, -|exec_hi|, null, -|vcc_lo|
// GFX13: v_cubeid_f32 v5, -|exec_hi|, null, -|vcc_lo| ; encoding: [0x05,0x05,0x0c,0xd6,0x7f,0xf8,0xa8,0xa1]

v_cubeid_f32 v5, null, exec_lo, -|0xaf123456|
// GFX13: v_cubeid_f32 v5, null, exec_lo, -|0xaf123456| ; encoding: [0x05,0x04,0x0c,0xd6,0x7c,0xfc,0xfc,0x83,0x56,0x34,0x12,0xaf]

v_cubeid_f32 v5, -1, -|exec_hi|, -|src_scc|
// GFX13: v_cubeid_f32 v5, -1, -|exec_hi|, -|src_scc| ; encoding: [0x05,0x06,0x0c,0xd6,0xc1,0xfe,0xf4,0xc3]

v_cubeid_f32 v5, 0.5, -m0, 0.5 mul:2
// GFX13: v_cubeid_f32 v5, 0.5, -m0, 0.5 mul:2    ; encoding: [0x05,0x00,0x0c,0xd6,0xf0,0xfa,0xc0,0x4b]

v_cubeid_f32 v5, -src_scc, |vcc_lo|, -1 mul:4
// GFX13: v_cubeid_f32 v5, -src_scc, |vcc_lo|, -1 mul:4 ; encoding: [0x05,0x02,0x0c,0xd6,0xfd,0xd4,0x04,0x33]

v_cubeid_f32 v255, -|0xaf123456|, -|vcc_hi|, null clamp div:2
// GFX13: v_cubeid_f32 v255, -|0xaf123456|, -|vcc_hi|, null clamp div:2 ; encoding: [0xff,0x83,0x0c,0xd6,0xff,0xd6,0xf0,0x79,0x56,0x34,0x12,0xaf]

v_cubema_f32 v5, v1, v2, s3
// GFX13: v_cubema_f32 v5, v1, v2, s3             ; encoding: [0x05,0x00,0x0f,0xd6,0x01,0x05,0x0e,0x00]

v_cubema_f32 v5, v255, s2, s105
// GFX13: v_cubema_f32 v5, v255, s2, s105         ; encoding: [0x05,0x00,0x0f,0xd6,0xff,0x05,0xa4,0x01]

v_cubema_f32 v5, s1, v255, exec_hi
// GFX13: v_cubema_f32 v5, s1, v255, exec_hi      ; encoding: [0x05,0x00,0x0f,0xd6,0x01,0xfe,0xff,0x01]

v_cubema_f32 v5, s105, s105, exec_lo
// GFX13: v_cubema_f32 v5, s105, s105, exec_lo    ; encoding: [0x05,0x00,0x0f,0xd6,0x69,0xd2,0xf8,0x01]

v_cubema_f32 v5, vcc_lo, ttmp15, v3
// GFX13: v_cubema_f32 v5, vcc_lo, ttmp15, v3     ; encoding: [0x05,0x00,0x0f,0xd6,0x6a,0xf6,0x0c,0x04]

v_cubema_f32 v5, vcc_hi, 0xaf123456, v255
// GFX13: v_cubema_f32 v5, vcc_hi, 0xaf123456, v255 ; encoding: [0x05,0x00,0x0f,0xd6,0x6b,0xfe,0xfd,0x07,0x56,0x34,0x12,0xaf]

v_cubema_f32 v5, -|ttmp15|, -|src_scc|, -|ttmp15|
// GFX13: v_cubema_f32 v5, -|ttmp15|, -|src_scc|, -|ttmp15| ; encoding: [0x05,0x07,0x0f,0xd6,0x7b,0xfa,0xed,0xe1]

v_cubema_f32 v5, m0, 0.5, m0
// GFX13: v_cubema_f32 v5, m0, 0.5, m0            ; encoding: [0x05,0x00,0x0f,0xd6,0x7d,0xe0,0xf5,0x01]

v_cubema_f32 v5, |exec_lo|, -1, vcc_hi
// GFX13: v_cubema_f32 v5, |exec_lo|, -1, vcc_hi  ; encoding: [0x05,0x01,0x0f,0xd6,0x7e,0x82,0xad,0x01]

v_cubema_f32 v5, -|exec_hi|, null, -|vcc_lo|
// GFX13: v_cubema_f32 v5, -|exec_hi|, null, -|vcc_lo| ; encoding: [0x05,0x05,0x0f,0xd6,0x7f,0xf8,0xa8,0xa1]

v_cubema_f32 v5, null, exec_lo, -|0xaf123456|
// GFX13: v_cubema_f32 v5, null, exec_lo, -|0xaf123456| ; encoding: [0x05,0x04,0x0f,0xd6,0x7c,0xfc,0xfc,0x83,0x56,0x34,0x12,0xaf]

v_cubema_f32 v5, -1, -|exec_hi|, -|src_scc|
// GFX13: v_cubema_f32 v5, -1, -|exec_hi|, -|src_scc| ; encoding: [0x05,0x06,0x0f,0xd6,0xc1,0xfe,0xf4,0xc3]

v_cubema_f32 v5, 0.5, -m0, 0.5 mul:2
// GFX13: v_cubema_f32 v5, 0.5, -m0, 0.5 mul:2    ; encoding: [0x05,0x00,0x0f,0xd6,0xf0,0xfa,0xc0,0x4b]

v_cubema_f32 v5, -src_scc, |vcc_lo|, -1 mul:4
// GFX13: v_cubema_f32 v5, -src_scc, |vcc_lo|, -1 mul:4 ; encoding: [0x05,0x02,0x0f,0xd6,0xfd,0xd4,0x04,0x33]

v_cubema_f32 v255, -|0xaf123456|, -|vcc_hi|, null clamp div:2
// GFX13: v_cubema_f32 v255, -|0xaf123456|, -|vcc_hi|, null clamp div:2 ; encoding: [0xff,0x83,0x0f,0xd6,0xff,0xd6,0xf0,0x79,0x56,0x34,0x12,0xaf]

v_cubesc_f32 v5, v1, v2, s3
// GFX13: v_cubesc_f32 v5, v1, v2, s3             ; encoding: [0x05,0x00,0x0d,0xd6,0x01,0x05,0x0e,0x00]

v_cubesc_f32 v5, v255, s2, s105
// GFX13: v_cubesc_f32 v5, v255, s2, s105         ; encoding: [0x05,0x00,0x0d,0xd6,0xff,0x05,0xa4,0x01]

v_cubesc_f32 v5, s1, v255, exec_hi
// GFX13: v_cubesc_f32 v5, s1, v255, exec_hi      ; encoding: [0x05,0x00,0x0d,0xd6,0x01,0xfe,0xff,0x01]

v_cubesc_f32 v5, s105, s105, exec_lo
// GFX13: v_cubesc_f32 v5, s105, s105, exec_lo    ; encoding: [0x05,0x00,0x0d,0xd6,0x69,0xd2,0xf8,0x01]

v_cubesc_f32 v5, vcc_lo, ttmp15, v3
// GFX13: v_cubesc_f32 v5, vcc_lo, ttmp15, v3     ; encoding: [0x05,0x00,0x0d,0xd6,0x6a,0xf6,0x0c,0x04]

v_cubesc_f32 v5, vcc_hi, 0xaf123456, v255
// GFX13: v_cubesc_f32 v5, vcc_hi, 0xaf123456, v255 ; encoding: [0x05,0x00,0x0d,0xd6,0x6b,0xfe,0xfd,0x07,0x56,0x34,0x12,0xaf]

v_cubesc_f32 v5, -|ttmp15|, -|src_scc|, -|ttmp15|
// GFX13: v_cubesc_f32 v5, -|ttmp15|, -|src_scc|, -|ttmp15| ; encoding: [0x05,0x07,0x0d,0xd6,0x7b,0xfa,0xed,0xe1]

v_cubesc_f32 v5, m0, 0.5, m0
// GFX13: v_cubesc_f32 v5, m0, 0.5, m0            ; encoding: [0x05,0x00,0x0d,0xd6,0x7d,0xe0,0xf5,0x01]

v_cubesc_f32 v5, |exec_lo|, -1, vcc_hi
// GFX13: v_cubesc_f32 v5, |exec_lo|, -1, vcc_hi  ; encoding: [0x05,0x01,0x0d,0xd6,0x7e,0x82,0xad,0x01]

v_cubesc_f32 v5, -|exec_hi|, null, -|vcc_lo|
// GFX13: v_cubesc_f32 v5, -|exec_hi|, null, -|vcc_lo| ; encoding: [0x05,0x05,0x0d,0xd6,0x7f,0xf8,0xa8,0xa1]

v_cubesc_f32 v5, null, exec_lo, -|0xaf123456|
// GFX13: v_cubesc_f32 v5, null, exec_lo, -|0xaf123456| ; encoding: [0x05,0x04,0x0d,0xd6,0x7c,0xfc,0xfc,0x83,0x56,0x34,0x12,0xaf]

v_cubesc_f32 v5, -1, -|exec_hi|, -|src_scc|
// GFX13: v_cubesc_f32 v5, -1, -|exec_hi|, -|src_scc| ; encoding: [0x05,0x06,0x0d,0xd6,0xc1,0xfe,0xf4,0xc3]

v_cubesc_f32 v5, 0.5, -m0, 0.5 mul:2
// GFX13: v_cubesc_f32 v5, 0.5, -m0, 0.5 mul:2    ; encoding: [0x05,0x00,0x0d,0xd6,0xf0,0xfa,0xc0,0x4b]

v_cubesc_f32 v5, -src_scc, |vcc_lo|, -1 mul:4
// GFX13: v_cubesc_f32 v5, -src_scc, |vcc_lo|, -1 mul:4 ; encoding: [0x05,0x02,0x0d,0xd6,0xfd,0xd4,0x04,0x33]

v_cubesc_f32 v255, -|0xaf123456|, -|vcc_hi|, null clamp div:2
// GFX13: v_cubesc_f32 v255, -|0xaf123456|, -|vcc_hi|, null clamp div:2 ; encoding: [0xff,0x83,0x0d,0xd6,0xff,0xd6,0xf0,0x79,0x56,0x34,0x12,0xaf]

v_cubetc_f32 v5, v1, v2, s3
// GFX13: v_cubetc_f32 v5, v1, v2, s3             ; encoding: [0x05,0x00,0x0e,0xd6,0x01,0x05,0x0e,0x00]

v_cubetc_f32 v5, v255, s2, s105
// GFX13: v_cubetc_f32 v5, v255, s2, s105         ; encoding: [0x05,0x00,0x0e,0xd6,0xff,0x05,0xa4,0x01]

v_cubetc_f32 v5, s1, v255, exec_hi
// GFX13: v_cubetc_f32 v5, s1, v255, exec_hi      ; encoding: [0x05,0x00,0x0e,0xd6,0x01,0xfe,0xff,0x01]

v_cubetc_f32 v5, s105, s105, exec_lo
// GFX13: v_cubetc_f32 v5, s105, s105, exec_lo    ; encoding: [0x05,0x00,0x0e,0xd6,0x69,0xd2,0xf8,0x01]

v_cubetc_f32 v5, vcc_lo, ttmp15, v3
// GFX13: v_cubetc_f32 v5, vcc_lo, ttmp15, v3     ; encoding: [0x05,0x00,0x0e,0xd6,0x6a,0xf6,0x0c,0x04]

v_cubetc_f32 v5, vcc_hi, 0xaf123456, v255
// GFX13: v_cubetc_f32 v5, vcc_hi, 0xaf123456, v255 ; encoding: [0x05,0x00,0x0e,0xd6,0x6b,0xfe,0xfd,0x07,0x56,0x34,0x12,0xaf]

v_cubetc_f32 v5, -|ttmp15|, -|src_scc|, -|ttmp15|
// GFX13: v_cubetc_f32 v5, -|ttmp15|, -|src_scc|, -|ttmp15| ; encoding: [0x05,0x07,0x0e,0xd6,0x7b,0xfa,0xed,0xe1]

v_cubetc_f32 v5, m0, 0.5, m0
// GFX13: v_cubetc_f32 v5, m0, 0.5, m0            ; encoding: [0x05,0x00,0x0e,0xd6,0x7d,0xe0,0xf5,0x01]

v_cubetc_f32 v5, |exec_lo|, -1, vcc_hi
// GFX13: v_cubetc_f32 v5, |exec_lo|, -1, vcc_hi  ; encoding: [0x05,0x01,0x0e,0xd6,0x7e,0x82,0xad,0x01]

v_cubetc_f32 v5, -|exec_hi|, null, -|vcc_lo|
// GFX13: v_cubetc_f32 v5, -|exec_hi|, null, -|vcc_lo| ; encoding: [0x05,0x05,0x0e,0xd6,0x7f,0xf8,0xa8,0xa1]

v_cubetc_f32 v5, null, exec_lo, -|0xaf123456|
// GFX13: v_cubetc_f32 v5, null, exec_lo, -|0xaf123456| ; encoding: [0x05,0x04,0x0e,0xd6,0x7c,0xfc,0xfc,0x83,0x56,0x34,0x12,0xaf]

v_cubetc_f32 v5, -1, -|exec_hi|, -|src_scc|
// GFX13: v_cubetc_f32 v5, -1, -|exec_hi|, -|src_scc| ; encoding: [0x05,0x06,0x0e,0xd6,0xc1,0xfe,0xf4,0xc3]

v_cubetc_f32 v5, 0.5, -m0, 0.5 mul:2
// GFX13: v_cubetc_f32 v5, 0.5, -m0, 0.5 mul:2    ; encoding: [0x05,0x00,0x0e,0xd6,0xf0,0xfa,0xc0,0x4b]

v_cubetc_f32 v5, -src_scc, |vcc_lo|, -1 mul:4
// GFX13: v_cubetc_f32 v5, -src_scc, |vcc_lo|, -1 mul:4 ; encoding: [0x05,0x02,0x0e,0xd6,0xfd,0xd4,0x04,0x33]

v_cubetc_f32 v255, -|0xaf123456|, -|vcc_hi|, null clamp div:2
// GFX13: v_cubetc_f32 v255, -|0xaf123456|, -|vcc_hi|, null clamp div:2 ; encoding: [0xff,0x83,0x0e,0xd6,0xff,0xd6,0xf0,0x79,0x56,0x34,0x12,0xaf]

v_cvt_pk_bf16_f32 v255, -|0xaf123456|, vcc_hi clamp div:2
// GFX13: v_cvt_pk_bf16_f32 v255, -|0xaf123456|, vcc_hi clamp div:2 ; encoding: [0xff,0x81,0x6e,0xd7,0xff,0xd6,0x00,0x3a,0x56,0x34,0x12,0xaf]

v_cvt_pk_bf16_f32 v5, -1, exec_hi
// GFX13: v_cvt_pk_bf16_f32 v5, -1, exec_hi       ; encoding: [0x05,0x00,0x6e,0xd7,0xc1,0xfe,0x00,0x02]

v_cvt_pk_bf16_f32 v5, 0.5, m0 mul:2
// GFX13: v_cvt_pk_bf16_f32 v5, 0.5, m0 mul:2     ; encoding: [0x05,0x00,0x6e,0xd7,0xf0,0xfa,0x00,0x0a]

v_cvt_pk_bf16_f32 v5, exec_hi, null
// GFX13: v_cvt_pk_bf16_f32 v5, exec_hi, null     ; encoding: [0x05,0x00,0x6e,0xd7,0x7f,0xf8,0x00,0x02]

v_cvt_pk_bf16_f32 v5, exec_lo, -1
// GFX13: v_cvt_pk_bf16_f32 v5, exec_lo, -1       ; encoding: [0x05,0x00,0x6e,0xd7,0x7e,0x82,0x01,0x02]

v_cvt_pk_bf16_f32 v5, m0, 0.5
// GFX13: v_cvt_pk_bf16_f32 v5, m0, 0.5           ; encoding: [0x05,0x00,0x6e,0xd7,0x7d,0xe0,0x01,0x02]

v_cvt_pk_bf16_f32 v5, null, exec_lo
// GFX13: v_cvt_pk_bf16_f32 v5, null, exec_lo     ; encoding: [0x05,0x00,0x6e,0xd7,0x7c,0xfc,0x00,0x02]

v_cvt_pk_bf16_f32 v5, s1, s2
// GFX13: v_cvt_pk_bf16_f32 v5, s1, s2            ; encoding: [0x05,0x00,0x6e,0xd7,0x01,0x04,0x00,0x02]

v_cvt_pk_bf16_f32 v5, s105, s105
// GFX13: v_cvt_pk_bf16_f32 v5, s105, s105        ; encoding: [0x05,0x00,0x6e,0xd7,0x69,0xd2,0x00,0x02]

v_cvt_pk_bf16_f32 v5, src_scc, vcc_lo mul:4
// GFX13: v_cvt_pk_bf16_f32 v5, src_scc, vcc_lo mul:4 ; encoding: [0x05,0x00,0x6e,0xd7,0xfd,0xd4,0x00,0x12]

v_cvt_pk_bf16_f32 v5, ttmp15, src_scc
// GFX13: v_cvt_pk_bf16_f32 v5, ttmp15, src_scc   ; encoding: [0x05,0x00,0x6e,0xd7,0x7b,0xfa,0x01,0x02]

v_cvt_pk_bf16_f32 v5, v1, v2
// GFX13: v_cvt_pk_bf16_f32 v5, v1, v2            ; encoding: [0x05,0x00,0x6e,0xd7,0x01,0x05,0x02,0x02]

v_cvt_pk_bf16_f32 v5, v255, v255
// GFX13: v_cvt_pk_bf16_f32 v5, v255, v255        ; encoding: [0x05,0x00,0x6e,0xd7,0xff,0xff,0x03,0x02]

v_cvt_pk_bf16_f32 v5, vcc_hi, 0xaf123456
// GFX13: v_cvt_pk_bf16_f32 v5, vcc_hi, 0xaf123456 ; encoding: [0x05,0x00,0x6e,0xd7,0x6b,0xfe,0x01,0x02,0x56,0x34,0x12,0xaf]

v_cvt_pk_bf16_f32 v5, vcc_lo, ttmp15
// GFX13: v_cvt_pk_bf16_f32 v5, vcc_lo, ttmp15    ; encoding: [0x05,0x00,0x6e,0xd7,0x6a,0xf6,0x00,0x02]

v_cvt_pk_bf8_f32 v1, -v2, |v3|
// GFX13: v_cvt_pk_bf8_f32 v1, -v2, |v3|          ; encoding: [0x01,0x02,0x7b,0xd7,0x02,0x07,0x02,0x22]

v_cvt_pk_bf8_f32 v1, s2, 3
// GFX13: v_cvt_pk_bf8_f32 v1, s2, 3              ; encoding: [0x01,0x00,0x7b,0xd7,0x02,0x06,0x01,0x02]

v_cvt_pk_bf8_f32 v1, v2, v3
// GFX13: v_cvt_pk_bf8_f32 v1, v2, v3             ; encoding: [0x01,0x00,0x7b,0xd7,0x02,0x07,0x02,0x02]

v_cvt_pk_fp8_f32 v1, -v2, |v3|
// GFX13: v_cvt_pk_fp8_f32 v1, -v2, |v3|          ; encoding: [0x01,0x02,0x7a,0xd7,0x02,0x07,0x02,0x22]

v_cvt_pk_fp8_f32 v1, s2, 3
// GFX13: v_cvt_pk_fp8_f32 v1, s2, 3              ; encoding: [0x01,0x00,0x7a,0xd7,0x02,0x06,0x01,0x02]

v_cvt_pk_fp8_f32 v1, v2, v3
// GFX13: v_cvt_pk_fp8_f32 v1, v2, v3             ; encoding: [0x01,0x00,0x7a,0xd7,0x02,0x07,0x02,0x02]

v_cvt_pk_fp8_f32 v1, -v2, |v3|
// GFX13: v_cvt_pk_fp8_f32 v1, -v2, |v3|          ; encoding: [0x01,0x02,0x7a,0xd7,0x02,0x07,0x02,0x22]

v_cvt_pk_fp8_f32 v1, s2, 3
// GFX13: v_cvt_pk_fp8_f32 v1, s2, 3              ; encoding: [0x01,0x00,0x7a,0xd7,0x02,0x06,0x01,0x02]

v_cvt_pk_bf8_f32 v1, v2, v3
// GFX13: v_cvt_pk_bf8_f32 v1, v2, v3             ; encoding: [0x01,0x00,0x7b,0xd7,0x02,0x07,0x02,0x02]

v_cvt_pk_bf8_f32 v1, -v2, |v3|
// GFX13: v_cvt_pk_bf8_f32 v1, -v2, |v3|          ; encoding: [0x01,0x02,0x7b,0xd7,0x02,0x07,0x02,0x22]

v_cvt_pk_bf8_f32 v1, s2, 3
// GFX13: v_cvt_pk_bf8_f32 v1, s2, 3              ; encoding: [0x01,0x00,0x7b,0xd7,0x02,0x06,0x01,0x02]

v_cvt_sr_bf8_f16 v1, -v2, v3
// GFX13: v_cvt_sr_bf8_f16 v1, -v2, v3            ; encoding: [0x01,0x00,0x36,0xd7,0x02,0x07,0x02,0x22]

v_cvt_sr_bf8_f16 v1, v2, 0x1234
// GFX13: v_cvt_sr_bf8_f16 v1, v2, 0x1234         ; encoding: [0x01,0x00,0x36,0xd7,0x02,0xff,0x01,0x02,0x34,0x12,0x00,0x00]

v_cvt_sr_bf8_f16 v1, v2, s3
// GFX13: v_cvt_sr_bf8_f16 v1, v2, s3             ; encoding: [0x01,0x00,0x36,0xd7,0x02,0x07,0x00,0x02]

v_cvt_sr_bf8_f16 v1, v2, v3
// GFX13: v_cvt_sr_bf8_f16 v1, v2, v3             ; encoding: [0x01,0x00,0x36,0xd7,0x02,0x07,0x02,0x02]

v_cvt_sr_bf8_f16 v1, v2, v3 byte_sel:1
// GFX13: v_cvt_sr_bf8_f16 v1, v2, v3 byte_sel:1  ; encoding: [0x01,0x20,0x36,0xd7,0x02,0x07,0x02,0x02]

v_cvt_sr_bf8_f16 v1, v2, v3 byte_sel:2
// GFX13: v_cvt_sr_bf8_f16 v1, v2, v3 byte_sel:2  ; encoding: [0x01,0x40,0x36,0xd7,0x02,0x07,0x02,0x02]

v_cvt_sr_bf8_f16 v1, v2, v3 byte_sel:3
// GFX13: v_cvt_sr_bf8_f16 v1, v2, v3 byte_sel:3  ; encoding: [0x01,0x60,0x36,0xd7,0x02,0x07,0x02,0x02]

v_cvt_sr_bf8_f16 v1, |v2|, v3
// GFX13: v_cvt_sr_bf8_f16 v1, |v2|, v3           ; encoding: [0x01,0x01,0x36,0xd7,0x02,0x07,0x02,0x02]

v_cvt_sr_bf8_f32 v1, v2, v3
// GFX13: v_cvt_sr_bf8_f32 v1, v2, v3             ; encoding: [0x01,0x00,0x38,0xd7,0x02,0x07,0x02,0x02]

v_cvt_sr_bf8_f32 v10, s2, v5
// GFX13: v_cvt_sr_bf8_f32 v10, s2, v5            ; encoding: [0x0a,0x00,0x38,0xd7,0x02,0x0a,0x02,0x02]

v_cvt_sr_bf8_f32 v5, -|v255|, v4
// GFX13: v_cvt_sr_bf8_f32 v5, -|v255|, v4        ; encoding: [0x05,0x01,0x38,0xd7,0xff,0x09,0x02,0x22]

v_cvt_sr_fp8_f16 v1, -v2, v3
// GFX13: v_cvt_sr_fp8_f16 v1, -v2, v3            ; encoding: [0x01,0x00,0x35,0xd7,0x02,0x07,0x02,0x22]

v_cvt_sr_fp8_f16 v1, v2, 0x1234
// GFX13: v_cvt_sr_fp8_f16 v1, v2, 0x1234         ; encoding: [0x01,0x00,0x35,0xd7,0x02,0xff,0x01,0x02,0x34,0x12,0x00,0x00]

v_cvt_sr_fp8_f16 v1, v2, s3
// GFX13: v_cvt_sr_fp8_f16 v1, v2, s3             ; encoding: [0x01,0x00,0x35,0xd7,0x02,0x07,0x00,0x02]

v_cvt_sr_fp8_f16 v1, v2, v3
// GFX13: v_cvt_sr_fp8_f16 v1, v2, v3             ; encoding: [0x01,0x00,0x35,0xd7,0x02,0x07,0x02,0x02]

v_cvt_sr_fp8_f16 v1, v2, v3 byte_sel:1
// GFX13: v_cvt_sr_fp8_f16 v1, v2, v3 byte_sel:1  ; encoding: [0x01,0x20,0x35,0xd7,0x02,0x07,0x02,0x02]

v_cvt_sr_fp8_f16 v1, v2, v3 byte_sel:2
// GFX13: v_cvt_sr_fp8_f16 v1, v2, v3 byte_sel:2  ; encoding: [0x01,0x40,0x35,0xd7,0x02,0x07,0x02,0x02]
	;; [unrolled: 3-line block ×3, first 2 shown]

v_cvt_sr_fp8_f16 v1, |v2|, v3
// GFX13: v_cvt_sr_fp8_f16 v1, |v2|, v3           ; encoding: [0x01,0x01,0x35,0xd7,0x02,0x07,0x02,0x02]

v_cvt_sr_fp8_f32 v1, v2, v3
// GFX13: v_cvt_sr_fp8_f32 v1, v2, v3             ; encoding: [0x01,0x00,0x37,0xd7,0x02,0x07,0x02,0x02]

v_cvt_sr_fp8_f32 v10, s2, v5
// GFX13: v_cvt_sr_fp8_f32 v10, s2, v5            ; encoding: [0x0a,0x00,0x37,0xd7,0x02,0x0a,0x02,0x02]

v_cvt_sr_fp8_f32 v5, -|v255|, v4
// GFX13: v_cvt_sr_fp8_f32 v5, -|v255|, v4        ; encoding: [0x05,0x01,0x37,0xd7,0xff,0x09,0x02,0x22]

v_cvt_sr_bf8_f32 v1, v2, v3
// GFX13: v_cvt_sr_bf8_f32 v1, v2, v3             ; encoding: [0x01,0x00,0x38,0xd7,0x02,0x07,0x02,0x02]

v_cvt_sr_bf8_f32 v10, s2, v5
// GFX13: v_cvt_sr_bf8_f32 v10, s2, v5            ; encoding: [0x0a,0x00,0x38,0xd7,0x02,0x0a,0x02,0x02]

v_cvt_sr_bf8_f32 v5, -|v255|, v4
// GFX13: v_cvt_sr_bf8_f32 v5, -|v255|, v4        ; encoding: [0x05,0x01,0x38,0xd7,0xff,0x09,0x02,0x22]

v_cvt_scale_pk8_f16_fp8 v[10:13], v[20:21], v8
// W32: v_cvt_scale_pk8_f16_fp8 v[10:13], v[20:21], v8 ; encoding: [0x0a,0x00,0xbe,0xd6,0x14,0x11,0x02,0x02]
// W64-ERR: :[[@LINE-2]]:1: error: instruction requires wavesize=32

v_cvt_scale_pk8_f16_fp8 v[10:13], v[20:21], 0xcf00
// W32: v_cvt_scale_pk8_f16_fp8 v[10:13], v[20:21], 0xcf00 ; encoding: [0x0a,0x00,0xbe,0xd6,0x14,0xff,0x01,0x02,0x00,0xcf,0x00,0x00]
// W64-ERR: :[[@LINE-2]]:1: error: instruction requires wavesize=32

v_cvt_scale_pk8_f16_fp8 v[10:13], v[20:21], v8 scale_sel:5
// W32: v_cvt_scale_pk8_f16_fp8 v[10:13], v[20:21], v8 scale_sel:5 ; encoding: [0x0a,0x28,0xbe,0xd6,0x14,0x11,0x02,0x02]
// W64-ERR: :[[@LINE-2]]:1: error: instruction requires wavesize=32

v_cvt_scale_pk8_bf16_fp8 v[10:13], v[20:21], v8
// W32: v_cvt_scale_pk8_bf16_fp8 v[10:13], v[20:21], v8 ; encoding: [0x0a,0x00,0xbb,0xd6,0x14,0x11,0x02,0x02]
// W64-ERR: :[[@LINE-2]]:1: error: instruction requires wavesize=32

v_cvt_scale_pk8_bf16_fp8 v[10:13], v[20:21], 0xcf00
// W32: v_cvt_scale_pk8_bf16_fp8 v[10:13], v[20:21], 0xcf00 ; encoding: [0x0a,0x00,0xbb,0xd6,0x14,0xff,0x01,0x02,0x00,0xcf,0x00,0x00]
// W64-ERR: :[[@LINE-2]]:1: error: instruction requires wavesize=32

v_cvt_scale_pk8_bf16_fp8 v[10:13], v[20:21], v8 scale_sel:6
// W32: v_cvt_scale_pk8_bf16_fp8 v[10:13], v[20:21], v8 scale_sel:6 ; encoding: [0x0a,0x30,0xbb,0xd6,0x14,0x11,0x02,0x02]
// W64-ERR: :[[@LINE-2]]:1: error: instruction requires wavesize=32

v_cvt_scale_pk8_f16_bf8 v[10:13], v[20:21], v8
// W32: v_cvt_scale_pk8_f16_bf8 v[10:13], v[20:21], v8 ; encoding: [0x0a,0x00,0xbc,0xd6,0x14,0x11,0x02,0x02]
// W64-ERR: :[[@LINE-2]]:1: error: instruction requires wavesize=32

v_cvt_scale_pk8_f16_bf8 v[10:13], v[20:21], 0xcf00
// W32: v_cvt_scale_pk8_f16_bf8 v[10:13], v[20:21], 0xcf00 ; encoding: [0x0a,0x00,0xbc,0xd6,0x14,0xff,0x01,0x02,0x00,0xcf,0x00,0x00]
// W64-ERR: :[[@LINE-2]]:1: error: instruction requires wavesize=32

v_cvt_scale_pk8_f16_bf8 v[10:13], v[20:21], v8 scale_sel:7
// W32: v_cvt_scale_pk8_f16_bf8 v[10:13], v[20:21], v8 scale_sel:7 ; encoding: [0x0a,0x38,0xbc,0xd6,0x14,0x11,0x02,0x02]
// W64-ERR: :[[@LINE-2]]:1: error: instruction requires wavesize=32

v_cvt_scale_pk8_bf16_bf8 v[10:13], v[20:21], v8
// W32: v_cvt_scale_pk8_bf16_bf8 v[10:13], v[20:21], v8 ; encoding: [0x0a,0x00,0xb9,0xd6,0x14,0x11,0x02,0x02]
// W64-ERR: :[[@LINE-2]]:1: error: instruction requires wavesize=32

v_cvt_scale_pk8_bf16_bf8 v[10:13], v[20:21], 0xcf00
// W32: v_cvt_scale_pk8_bf16_bf8 v[10:13], v[20:21], 0xcf00 ; encoding: [0x0a,0x00,0xb9,0xd6,0x14,0xff,0x01,0x02,0x00,0xcf,0x00,0x00]
// W64-ERR: :[[@LINE-2]]:1: error: instruction requires wavesize=32

v_cvt_scale_pk8_bf16_bf8 v[10:13], v[20:21], v8 scale_sel:1
// W32: v_cvt_scale_pk8_bf16_bf8 v[10:13], v[20:21], v8 scale_sel:1 ; encoding: [0x0a,0x08,0xb9,0xd6,0x14,0x11,0x02,0x02]
// W64-ERR: :[[@LINE-2]]:1: error: instruction requires wavesize=32

v_cvt_scale_pk8_bf16_fp4 v[10:13], v20, v8
// W32: v_cvt_scale_pk8_bf16_fp4 v[10:13], v20, v8 ; encoding: [0x0a,0x00,0xba,0xd6,0x14,0x11,0x02,0x02]
// W64-ERR: :[[@LINE-2]]:1: error: instruction requires wavesize=32

v_cvt_scale_pk8_bf16_fp4 v[10:13], v20, 0xcf00
// W32: v_cvt_scale_pk8_bf16_fp4 v[10:13], v20, 0xcf00 ; encoding: [0x0a,0x00,0xba,0xd6,0x14,0xff,0x01,0x02,0x00,0xcf,0x00,0x00]
// W64-ERR: :[[@LINE-2]]:1: error: instruction requires wavesize=32

v_cvt_scale_pk8_bf16_fp4 v[10:13], v20, v8 scale_sel:2
// W32: v_cvt_scale_pk8_bf16_fp4 v[10:13], v20, v8 scale_sel:2 ; encoding: [0x0a,0x10,0xba,0xd6,0x14,0x11,0x02,0x02]
// W64-ERR: :[[@LINE-2]]:1: error: instruction requires wavesize=32

v_cvt_scale_pk8_f16_fp4 v[10:13], v20, v8
// W32: v_cvt_scale_pk8_f16_fp4 v[10:13], v20, v8 ; encoding: [0x0a,0x00,0xbd,0xd6,0x14,0x11,0x02,0x02]
// W64-ERR: :[[@LINE-2]]:1: error: instruction requires wavesize=32

v_cvt_scale_pk8_f16_fp4 v[10:13], v20, 0xcf00
// W32: v_cvt_scale_pk8_f16_fp4 v[10:13], v20, 0xcf00 ; encoding: [0x0a,0x00,0xbd,0xd6,0x14,0xff,0x01,0x02,0x00,0xcf,0x00,0x00]
// W64-ERR: :[[@LINE-2]]:1: error: instruction requires wavesize=32

v_cvt_scale_pk8_f16_fp4 v[10:13], v20, v8 scale_sel:3
// W32: v_cvt_scale_pk8_f16_fp4 v[10:13], v20, v8 scale_sel:3 ; encoding: [0x0a,0x18,0xbd,0xd6,0x14,0x11,0x02,0x02]
// W64-ERR: :[[@LINE-2]]:1: error: instruction requires wavesize=32

v_cvt_scale_pk8_f32_fp8 v[10:17], v[20:21], v8
// W32: v_cvt_scale_pk8_f32_fp8 v[10:17], v[20:21], v8 ; encoding: [0x0a,0x00,0xc1,0xd6,0x14,0x11,0x02,0x02]
// W64-ERR: :[[@LINE-2]]:1: error: instruction requires wavesize=32

v_cvt_scale_pk8_f32_fp8 v[10:17], v[20:21], 0xcf00
// W32: v_cvt_scale_pk8_f32_fp8 v[10:17], v[20:21], 0xcf00 ; encoding: [0x0a,0x00,0xc1,0xd6,0x14,0xff,0x01,0x02,0x00,0xcf,0x00,0x00]
// W64-ERR: :[[@LINE-2]]:1: error: instruction requires wavesize=32

v_cvt_scale_pk8_f32_fp8 v[10:17], v[20:21], v8 scale_sel:6
// W32: v_cvt_scale_pk8_f32_fp8 v[10:17], v[20:21], v8 scale_sel:6 ; encoding: [0x0a,0x30,0xc1,0xd6,0x14,0x11,0x02,0x02]
// W64-ERR: :[[@LINE-2]]:1: error: instruction requires wavesize=32

v_cvt_scale_pk8_f32_bf8 v[10:17], v[20:21], v8
// W32: v_cvt_scale_pk8_f32_bf8 v[10:17], v[20:21], v8 ; encoding: [0x0a,0x00,0xbf,0xd6,0x14,0x11,0x02,0x02]
// W64-ERR: :[[@LINE-2]]:1: error: instruction requires wavesize=32

v_cvt_scale_pk8_f32_bf8 v[10:17], v[20:21], 0xcf00
// W32: v_cvt_scale_pk8_f32_bf8 v[10:17], v[20:21], 0xcf00 ; encoding: [0x0a,0x00,0xbf,0xd6,0x14,0xff,0x01,0x02,0x00,0xcf,0x00,0x00]
// W64-ERR: :[[@LINE-2]]:1: error: instruction requires wavesize=32

v_cvt_scale_pk8_f32_bf8 v[10:17], v[20:21], v8 scale_sel:7
// W32: v_cvt_scale_pk8_f32_bf8 v[10:17], v[20:21], v8 scale_sel:7 ; encoding: [0x0a,0x38,0xbf,0xd6,0x14,0x11,0x02,0x02]
// W64-ERR: :[[@LINE-2]]:1: error: instruction requires wavesize=32

v_cvt_scale_pk8_f32_fp4 v[10:17], v20, v8
// W32: v_cvt_scale_pk8_f32_fp4 v[10:17], v20, v8 ; encoding: [0x0a,0x00,0xc0,0xd6,0x14,0x11,0x02,0x02]
// W64-ERR: :[[@LINE-2]]:1: error: instruction requires wavesize=32

v_cvt_scale_pk8_f32_fp4 v[10:17], v20, 0xcf00
// W32: v_cvt_scale_pk8_f32_fp4 v[10:17], v20, 0xcf00 ; encoding: [0x0a,0x00,0xc0,0xd6,0x14,0xff,0x01,0x02,0x00,0xcf,0x00,0x00]
// W64-ERR: :[[@LINE-2]]:1: error: instruction requires wavesize=32

v_cvt_scale_pk8_f32_fp4 v[10:17], v20, v8 scale_sel:1
// W32: v_cvt_scale_pk8_f32_fp4 v[10:17], v20, v8 scale_sel:1 ; encoding: [0x0a,0x08,0xc0,0xd6,0x14,0x11,0x02,0x02]
// W64-ERR: :[[@LINE-2]]:1: error: instruction requires wavesize=32

v_cvt_pk_i16_f32 v5, v1, v2
// GFX13: v_cvt_pk_i16_f32 v5, v1, v2             ; encoding: [0x05,0x00,0x21,0xd7,0x01,0x05,0x02,0x02]

v_cvt_pk_i16_f32 v5, v255, v255
// GFX13: v_cvt_pk_i16_f32 v5, v255, v255         ; encoding: [0x05,0x00,0x21,0xd7,0xff,0xff,0x03,0x02]

v_cvt_pk_i16_f32 v5, s1, s2
// GFX13: v_cvt_pk_i16_f32 v5, s1, s2             ; encoding: [0x05,0x00,0x21,0xd7,0x01,0x04,0x00,0x02]

v_cvt_pk_i16_f32 v5, s105, s105
// GFX13: v_cvt_pk_i16_f32 v5, s105, s105         ; encoding: [0x05,0x00,0x21,0xd7,0x69,0xd2,0x00,0x02]

v_cvt_pk_i16_f32 v5, vcc_lo, ttmp15
// GFX13: v_cvt_pk_i16_f32 v5, vcc_lo, ttmp15     ; encoding: [0x05,0x00,0x21,0xd7,0x6a,0xf6,0x00,0x02]

v_cvt_pk_i16_f32 v5, vcc_hi, 0xaf123456
// GFX13: v_cvt_pk_i16_f32 v5, vcc_hi, 0xaf123456 ; encoding: [0x05,0x00,0x21,0xd7,0x6b,0xfe,0x01,0x02,0x56,0x34,0x12,0xaf]

v_cvt_pk_i16_f32 v5, ttmp15, src_scc
// GFX13: v_cvt_pk_i16_f32 v5, ttmp15, src_scc    ; encoding: [0x05,0x00,0x21,0xd7,0x7b,0xfa,0x01,0x02]

v_cvt_pk_i16_f32 v5, m0, 0.5
// GFX13: v_cvt_pk_i16_f32 v5, m0, 0.5            ; encoding: [0x05,0x00,0x21,0xd7,0x7d,0xe0,0x01,0x02]

v_cvt_pk_i16_f32 v5, exec_lo, -1
// GFX13: v_cvt_pk_i16_f32 v5, exec_lo, -1        ; encoding: [0x05,0x00,0x21,0xd7,0x7e,0x82,0x01,0x02]

v_cvt_pk_i16_f32 v5, |exec_hi|, null
// GFX13: v_cvt_pk_i16_f32 v5, |exec_hi|, null    ; encoding: [0x05,0x01,0x21,0xd7,0x7f,0xf8,0x00,0x02]

v_cvt_pk_i16_f32 v5, null, exec_lo
// GFX13: v_cvt_pk_i16_f32 v5, null, exec_lo      ; encoding: [0x05,0x00,0x21,0xd7,0x7c,0xfc,0x00,0x02]

v_cvt_pk_i16_f32 v5, -1, exec_hi
// GFX13: v_cvt_pk_i16_f32 v5, -1, exec_hi        ; encoding: [0x05,0x00,0x21,0xd7,0xc1,0xfe,0x00,0x02]

v_cvt_pk_i16_f32 v5, 0.5, -m0
// GFX13: v_cvt_pk_i16_f32 v5, 0.5, -m0           ; encoding: [0x05,0x00,0x21,0xd7,0xf0,0xfa,0x00,0x42]

v_cvt_pk_i16_f32 v5, -src_scc, |vcc_lo|
// GFX13: v_cvt_pk_i16_f32 v5, -src_scc, |vcc_lo| ; encoding: [0x05,0x02,0x21,0xd7,0xfd,0xd4,0x00,0x22]

v_cvt_pk_i16_f32 v255, -|0xaf123456|, -|vcc_hi|
// GFX13: v_cvt_pk_i16_f32 v255, -|0xaf123456|, -|vcc_hi| ; encoding: [0xff,0x03,0x21,0xd7,0xff,0xd6,0x00,0x62,0x56,0x34,0x12,0xaf]

v_cvt_pk_i16_i32 v5, v1, v2
// GFX13: v_cvt_pk_i16_i32 v5, v1, v2             ; encoding: [0x05,0x00,0x6b,0xd7,0x01,0x05,0x02,0x02]

v_cvt_pk_i16_i32 v5, v255, v255
// GFX13: v_cvt_pk_i16_i32 v5, v255, v255         ; encoding: [0x05,0x00,0x6b,0xd7,0xff,0xff,0x03,0x02]

v_cvt_pk_i16_i32 v5, s1, s2
// GFX13: v_cvt_pk_i16_i32 v5, s1, s2             ; encoding: [0x05,0x00,0x6b,0xd7,0x01,0x04,0x00,0x02]

v_cvt_pk_i16_i32 v5, s105, s105
// GFX13: v_cvt_pk_i16_i32 v5, s105, s105         ; encoding: [0x05,0x00,0x6b,0xd7,0x69,0xd2,0x00,0x02]

v_cvt_pk_i16_i32 v5, vcc_lo, ttmp15
// GFX13: v_cvt_pk_i16_i32 v5, vcc_lo, ttmp15     ; encoding: [0x05,0x00,0x6b,0xd7,0x6a,0xf6,0x00,0x02]

v_cvt_pk_i16_i32 v5, vcc_hi, 0xaf123456
// GFX13: v_cvt_pk_i16_i32 v5, vcc_hi, 0xaf123456 ; encoding: [0x05,0x00,0x6b,0xd7,0x6b,0xfe,0x01,0x02,0x56,0x34,0x12,0xaf]

v_cvt_pk_i16_i32 v5, ttmp15, src_scc
// GFX13: v_cvt_pk_i16_i32 v5, ttmp15, src_scc    ; encoding: [0x05,0x00,0x6b,0xd7,0x7b,0xfa,0x01,0x02]

v_cvt_pk_i16_i32 v5, m0, 0.5
// GFX13: v_cvt_pk_i16_i32 v5, m0, 0.5            ; encoding: [0x05,0x00,0x6b,0xd7,0x7d,0xe0,0x01,0x02]

v_cvt_pk_i16_i32 v5, exec_lo, -1
// GFX13: v_cvt_pk_i16_i32 v5, exec_lo, -1        ; encoding: [0x05,0x00,0x6b,0xd7,0x7e,0x82,0x01,0x02]

v_cvt_pk_i16_i32 v5, exec_hi, null
// GFX13: v_cvt_pk_i16_i32 v5, exec_hi, null      ; encoding: [0x05,0x00,0x6b,0xd7,0x7f,0xf8,0x00,0x02]

v_cvt_pk_i16_i32 v5, null, exec_lo
// GFX13: v_cvt_pk_i16_i32 v5, null, exec_lo      ; encoding: [0x05,0x00,0x6b,0xd7,0x7c,0xfc,0x00,0x02]

v_cvt_pk_i16_i32 v5, -1, exec_hi
// GFX13: v_cvt_pk_i16_i32 v5, -1, exec_hi        ; encoding: [0x05,0x00,0x6b,0xd7,0xc1,0xfe,0x00,0x02]

v_cvt_pk_i16_i32 v5, 0.5, m0
// GFX13: v_cvt_pk_i16_i32 v5, 0.5, m0            ; encoding: [0x05,0x00,0x6b,0xd7,0xf0,0xfa,0x00,0x02]

v_cvt_pk_i16_i32 v5, src_scc, vcc_lo
// GFX13: v_cvt_pk_i16_i32 v5, src_scc, vcc_lo    ; encoding: [0x05,0x00,0x6b,0xd7,0xfd,0xd4,0x00,0x02]

v_cvt_pk_i16_i32 v255, 0xaf123456, vcc_hi
// GFX13: v_cvt_pk_i16_i32 v255, 0xaf123456, vcc_hi ; encoding: [0xff,0x00,0x6b,0xd7,0xff,0xd6,0x00,0x02,0x56,0x34,0x12,0xaf]

v_cvt_pk_norm_i16_f16 v5, v1, v2
// GFX13: v_cvt_pk_norm_i16_f16 v5, v1, v2        ; encoding: [0x05,0x00,0x12,0xd7,0x01,0x05,0x02,0x02]

v_cvt_pk_norm_i16_f16 v5, v255, v255
// GFX13: v_cvt_pk_norm_i16_f16 v5, v255, v255    ; encoding: [0x05,0x00,0x12,0xd7,0xff,0xff,0x03,0x02]

v_cvt_pk_norm_i16_f16 v5, s1, s2
// GFX13: v_cvt_pk_norm_i16_f16 v5, s1, s2        ; encoding: [0x05,0x00,0x12,0xd7,0x01,0x04,0x00,0x02]

v_cvt_pk_norm_i16_f16 v5, s105, s105
// GFX13: v_cvt_pk_norm_i16_f16 v5, s105, s105    ; encoding: [0x05,0x00,0x12,0xd7,0x69,0xd2,0x00,0x02]

v_cvt_pk_norm_i16_f16 v5, vcc_lo, ttmp15
// GFX13: v_cvt_pk_norm_i16_f16 v5, vcc_lo, ttmp15 ; encoding: [0x05,0x00,0x12,0xd7,0x6a,0xf6,0x00,0x02]

v_cvt_pk_norm_i16_f16 v5, vcc_hi, 0xfe0b
// GFX13: v_cvt_pk_norm_i16_f16 v5, vcc_hi, 0xfe0b ; encoding: [0x05,0x00,0x12,0xd7,0x6b,0xfe,0x01,0x02,0x0b,0xfe,0x00,0x00]

v_cvt_pk_norm_i16_f16 v5, ttmp15, src_scc
// GFX13: v_cvt_pk_norm_i16_f16 v5, ttmp15, src_scc ; encoding: [0x05,0x00,0x12,0xd7,0x7b,0xfa,0x01,0x02]

v_cvt_pk_norm_i16_f16 v5, m0, 0.5
// GFX13: v_cvt_pk_norm_i16_f16 v5, m0, 0.5       ; encoding: [0x05,0x00,0x12,0xd7,0x7d,0xe0,0x01,0x02]

v_cvt_pk_norm_i16_f16 v5, exec_lo, -1
// GFX13: v_cvt_pk_norm_i16_f16 v5, exec_lo, -1   ; encoding: [0x05,0x00,0x12,0xd7,0x7e,0x82,0x01,0x02]

v_cvt_pk_norm_i16_f16 v5, |exec_hi|, null
// GFX13: v_cvt_pk_norm_i16_f16 v5, |exec_hi|, null ; encoding: [0x05,0x01,0x12,0xd7,0x7f,0xf8,0x00,0x02]

v_cvt_pk_norm_i16_f16 v5, null, exec_lo
// GFX13: v_cvt_pk_norm_i16_f16 v5, null, exec_lo ; encoding: [0x05,0x00,0x12,0xd7,0x7c,0xfc,0x00,0x02]

v_cvt_pk_norm_i16_f16 v5, -1, exec_hi
// GFX13: v_cvt_pk_norm_i16_f16 v5, -1, exec_hi   ; encoding: [0x05,0x00,0x12,0xd7,0xc1,0xfe,0x00,0x02]

v_cvt_pk_norm_i16_f16 v5, 0.5, -m0 op_sel:[0,0,0]
// GFX13: v_cvt_pk_norm_i16_f16 v5, 0.5, -m0      ; encoding: [0x05,0x00,0x12,0xd7,0xf0,0xfa,0x00,0x42]

v_cvt_pk_norm_i16_f16 v5, -src_scc, |vcc_lo| op_sel:[1,0,0]
// GFX13: v_cvt_pk_norm_i16_f16 v5, -src_scc, |vcc_lo| op_sel:[1,0,0] ; encoding: [0x05,0x0a,0x12,0xd7,0xfd,0xd4,0x00,0x22]

v_cvt_pk_norm_i16_f16 v255, -|0xfe0b|, -|vcc_hi| op_sel:[0,1,0]
// GFX13: v_cvt_pk_norm_i16_f16 v255, -|0xfe0b|, -|vcc_hi| op_sel:[0,1,0] ; encoding: [0xff,0x13,0x12,0xd7,0xff,0xd6,0x00,0x62,0x0b,0xfe,0x00,0x00]

v_cvt_pk_norm_u16_f16 v5, v1, v2
// GFX13: v_cvt_pk_norm_u16_f16 v5, v1, v2        ; encoding: [0x05,0x00,0x13,0xd7,0x01,0x05,0x02,0x02]

v_cvt_pk_norm_u16_f16 v5, v255, v255
// GFX13: v_cvt_pk_norm_u16_f16 v5, v255, v255    ; encoding: [0x05,0x00,0x13,0xd7,0xff,0xff,0x03,0x02]

v_cvt_pk_norm_u16_f16 v5, s1, s2
// GFX13: v_cvt_pk_norm_u16_f16 v5, s1, s2        ; encoding: [0x05,0x00,0x13,0xd7,0x01,0x04,0x00,0x02]

v_cvt_pk_norm_u16_f16 v5, s105, s105
// GFX13: v_cvt_pk_norm_u16_f16 v5, s105, s105    ; encoding: [0x05,0x00,0x13,0xd7,0x69,0xd2,0x00,0x02]

v_cvt_pk_norm_u16_f16 v5, vcc_lo, ttmp15
// GFX13: v_cvt_pk_norm_u16_f16 v5, vcc_lo, ttmp15 ; encoding: [0x05,0x00,0x13,0xd7,0x6a,0xf6,0x00,0x02]

v_cvt_pk_norm_u16_f16 v5, vcc_hi, 0xfe0b
// GFX13: v_cvt_pk_norm_u16_f16 v5, vcc_hi, 0xfe0b ; encoding: [0x05,0x00,0x13,0xd7,0x6b,0xfe,0x01,0x02,0x0b,0xfe,0x00,0x00]

v_cvt_pk_norm_u16_f16 v5, ttmp15, src_scc
// GFX13: v_cvt_pk_norm_u16_f16 v5, ttmp15, src_scc ; encoding: [0x05,0x00,0x13,0xd7,0x7b,0xfa,0x01,0x02]

v_cvt_pk_norm_u16_f16 v5, m0, 0.5
// GFX13: v_cvt_pk_norm_u16_f16 v5, m0, 0.5       ; encoding: [0x05,0x00,0x13,0xd7,0x7d,0xe0,0x01,0x02]

v_cvt_pk_norm_u16_f16 v5, exec_lo, -1
// GFX13: v_cvt_pk_norm_u16_f16 v5, exec_lo, -1   ; encoding: [0x05,0x00,0x13,0xd7,0x7e,0x82,0x01,0x02]

v_cvt_pk_norm_u16_f16 v5, |exec_hi|, null
// GFX13: v_cvt_pk_norm_u16_f16 v5, |exec_hi|, null ; encoding: [0x05,0x01,0x13,0xd7,0x7f,0xf8,0x00,0x02]

v_cvt_pk_norm_u16_f16 v5, null, exec_lo
// GFX13: v_cvt_pk_norm_u16_f16 v5, null, exec_lo ; encoding: [0x05,0x00,0x13,0xd7,0x7c,0xfc,0x00,0x02]

v_cvt_pk_norm_u16_f16 v5, -1, exec_hi
// GFX13: v_cvt_pk_norm_u16_f16 v5, -1, exec_hi   ; encoding: [0x05,0x00,0x13,0xd7,0xc1,0xfe,0x00,0x02]

v_cvt_pk_norm_u16_f16 v5, 0.5, -m0 op_sel:[0,0,0]
// GFX13: v_cvt_pk_norm_u16_f16 v5, 0.5, -m0      ; encoding: [0x05,0x00,0x13,0xd7,0xf0,0xfa,0x00,0x42]

v_cvt_pk_norm_u16_f16 v5, -src_scc, |vcc_lo| op_sel:[1,0,0]
// GFX13: v_cvt_pk_norm_u16_f16 v5, -src_scc, |vcc_lo| op_sel:[1,0,0] ; encoding: [0x05,0x0a,0x13,0xd7,0xfd,0xd4,0x00,0x22]

v_cvt_pk_norm_u16_f16 v255, -|0xfe0b|, -|vcc_hi| op_sel:[0,1,0]
// GFX13: v_cvt_pk_norm_u16_f16 v255, -|0xfe0b|, -|vcc_hi| op_sel:[0,1,0] ; encoding: [0xff,0x13,0x13,0xd7,0xff,0xd6,0x00,0x62,0x0b,0xfe,0x00,0x00]

v_cvt_pk_u16_f32 v5, v1, v2
// GFX13: v_cvt_pk_u16_f32 v5, v1, v2             ; encoding: [0x05,0x00,0x22,0xd7,0x01,0x05,0x02,0x02]

v_cvt_pk_u16_f32 v5, v255, v255
// GFX13: v_cvt_pk_u16_f32 v5, v255, v255         ; encoding: [0x05,0x00,0x22,0xd7,0xff,0xff,0x03,0x02]

v_cvt_pk_u16_f32 v5, s1, s2
// GFX13: v_cvt_pk_u16_f32 v5, s1, s2             ; encoding: [0x05,0x00,0x22,0xd7,0x01,0x04,0x00,0x02]

v_cvt_pk_u16_f32 v5, s105, s105
// GFX13: v_cvt_pk_u16_f32 v5, s105, s105         ; encoding: [0x05,0x00,0x22,0xd7,0x69,0xd2,0x00,0x02]

v_cvt_pk_u16_f32 v5, vcc_lo, ttmp15
// GFX13: v_cvt_pk_u16_f32 v5, vcc_lo, ttmp15     ; encoding: [0x05,0x00,0x22,0xd7,0x6a,0xf6,0x00,0x02]

v_cvt_pk_u16_f32 v5, vcc_hi, 0xaf123456
// GFX13: v_cvt_pk_u16_f32 v5, vcc_hi, 0xaf123456 ; encoding: [0x05,0x00,0x22,0xd7,0x6b,0xfe,0x01,0x02,0x56,0x34,0x12,0xaf]

v_cvt_pk_u16_f32 v5, ttmp15, src_scc
// GFX13: v_cvt_pk_u16_f32 v5, ttmp15, src_scc    ; encoding: [0x05,0x00,0x22,0xd7,0x7b,0xfa,0x01,0x02]

v_cvt_pk_u16_f32 v5, m0, 0.5
// GFX13: v_cvt_pk_u16_f32 v5, m0, 0.5            ; encoding: [0x05,0x00,0x22,0xd7,0x7d,0xe0,0x01,0x02]

v_cvt_pk_u16_f32 v5, exec_lo, -1
// GFX13: v_cvt_pk_u16_f32 v5, exec_lo, -1        ; encoding: [0x05,0x00,0x22,0xd7,0x7e,0x82,0x01,0x02]

v_cvt_pk_u16_f32 v5, |exec_hi|, null
// GFX13: v_cvt_pk_u16_f32 v5, |exec_hi|, null    ; encoding: [0x05,0x01,0x22,0xd7,0x7f,0xf8,0x00,0x02]

v_cvt_pk_u16_f32 v5, null, exec_lo
// GFX13: v_cvt_pk_u16_f32 v5, null, exec_lo      ; encoding: [0x05,0x00,0x22,0xd7,0x7c,0xfc,0x00,0x02]

v_cvt_pk_u16_f32 v5, -1, exec_hi
// GFX13: v_cvt_pk_u16_f32 v5, -1, exec_hi        ; encoding: [0x05,0x00,0x22,0xd7,0xc1,0xfe,0x00,0x02]

v_cvt_pk_u16_f32 v5, 0.5, -m0
// GFX13: v_cvt_pk_u16_f32 v5, 0.5, -m0           ; encoding: [0x05,0x00,0x22,0xd7,0xf0,0xfa,0x00,0x42]

v_cvt_pk_u16_f32 v5, -src_scc, |vcc_lo|
// GFX13: v_cvt_pk_u16_f32 v5, -src_scc, |vcc_lo| ; encoding: [0x05,0x02,0x22,0xd7,0xfd,0xd4,0x00,0x22]

v_cvt_pk_u16_f32 v255, -|0xaf123456|, -|vcc_hi|
// GFX13: v_cvt_pk_u16_f32 v255, -|0xaf123456|, -|vcc_hi| ; encoding: [0xff,0x03,0x22,0xd7,0xff,0xd6,0x00,0x62,0x56,0x34,0x12,0xaf]

v_cvt_pk_u16_u32 v5, v1, v2
// GFX13: v_cvt_pk_u16_u32 v5, v1, v2             ; encoding: [0x05,0x00,0x6a,0xd7,0x01,0x05,0x02,0x02]

v_cvt_pk_u16_u32 v5, v255, v255
// GFX13: v_cvt_pk_u16_u32 v5, v255, v255         ; encoding: [0x05,0x00,0x6a,0xd7,0xff,0xff,0x03,0x02]

v_cvt_pk_u16_u32 v5, s1, s2
// GFX13: v_cvt_pk_u16_u32 v5, s1, s2             ; encoding: [0x05,0x00,0x6a,0xd7,0x01,0x04,0x00,0x02]

v_cvt_pk_u16_u32 v5, s105, s105
// GFX13: v_cvt_pk_u16_u32 v5, s105, s105         ; encoding: [0x05,0x00,0x6a,0xd7,0x69,0xd2,0x00,0x02]

v_cvt_pk_u16_u32 v5, vcc_lo, ttmp15
// GFX13: v_cvt_pk_u16_u32 v5, vcc_lo, ttmp15     ; encoding: [0x05,0x00,0x6a,0xd7,0x6a,0xf6,0x00,0x02]

v_cvt_pk_u16_u32 v5, vcc_hi, 0xaf123456
// GFX13: v_cvt_pk_u16_u32 v5, vcc_hi, 0xaf123456 ; encoding: [0x05,0x00,0x6a,0xd7,0x6b,0xfe,0x01,0x02,0x56,0x34,0x12,0xaf]

v_cvt_pk_u16_u32 v5, ttmp15, src_scc
// GFX13: v_cvt_pk_u16_u32 v5, ttmp15, src_scc    ; encoding: [0x05,0x00,0x6a,0xd7,0x7b,0xfa,0x01,0x02]

v_cvt_pk_u16_u32 v5, m0, 0.5
// GFX13: v_cvt_pk_u16_u32 v5, m0, 0.5            ; encoding: [0x05,0x00,0x6a,0xd7,0x7d,0xe0,0x01,0x02]

v_cvt_pk_u16_u32 v5, exec_lo, -1
// GFX13: v_cvt_pk_u16_u32 v5, exec_lo, -1        ; encoding: [0x05,0x00,0x6a,0xd7,0x7e,0x82,0x01,0x02]

v_cvt_pk_u16_u32 v5, exec_hi, null
// GFX13: v_cvt_pk_u16_u32 v5, exec_hi, null      ; encoding: [0x05,0x00,0x6a,0xd7,0x7f,0xf8,0x00,0x02]

v_cvt_pk_u16_u32 v5, null, exec_lo
// GFX13: v_cvt_pk_u16_u32 v5, null, exec_lo      ; encoding: [0x05,0x00,0x6a,0xd7,0x7c,0xfc,0x00,0x02]

v_cvt_pk_u16_u32 v5, -1, exec_hi
// GFX13: v_cvt_pk_u16_u32 v5, -1, exec_hi        ; encoding: [0x05,0x00,0x6a,0xd7,0xc1,0xfe,0x00,0x02]

v_cvt_pk_u16_u32 v5, 0.5, m0
// GFX13: v_cvt_pk_u16_u32 v5, 0.5, m0            ; encoding: [0x05,0x00,0x6a,0xd7,0xf0,0xfa,0x00,0x02]

v_cvt_pk_u16_u32 v5, src_scc, vcc_lo
// GFX13: v_cvt_pk_u16_u32 v5, src_scc, vcc_lo    ; encoding: [0x05,0x00,0x6a,0xd7,0xfd,0xd4,0x00,0x02]

v_cvt_pk_u16_u32 v255, 0xaf123456, vcc_hi
// GFX13: v_cvt_pk_u16_u32 v255, 0xaf123456, vcc_hi ; encoding: [0xff,0x00,0x6a,0xd7,0xff,0xd6,0x00,0x02,0x56,0x34,0x12,0xaf]

v_cvt_pk_u8_f32 v5, v1, v2, s3
// GFX13: v_cvt_pk_u8_f32 v5, v1, v2, s3          ; encoding: [0x05,0x00,0x26,0xd6,0x01,0x05,0x0e,0x00]

v_cvt_pk_u8_f32 v5, v255, s2, s105
// GFX13: v_cvt_pk_u8_f32 v5, v255, s2, s105      ; encoding: [0x05,0x00,0x26,0xd6,0xff,0x05,0xa4,0x01]

v_cvt_pk_u8_f32 v5, s1, v255, exec_hi
// GFX13: v_cvt_pk_u8_f32 v5, s1, v255, exec_hi   ; encoding: [0x05,0x00,0x26,0xd6,0x01,0xfe,0xff,0x01]

v_cvt_pk_u8_f32 v5, s105, s105, exec_lo
// GFX13: v_cvt_pk_u8_f32 v5, s105, s105, exec_lo ; encoding: [0x05,0x00,0x26,0xd6,0x69,0xd2,0xf8,0x01]

v_cvt_pk_u8_f32 v5, vcc_lo, ttmp15, v3
// GFX13: v_cvt_pk_u8_f32 v5, vcc_lo, ttmp15, v3  ; encoding: [0x05,0x00,0x26,0xd6,0x6a,0xf6,0x0c,0x04]

v_cvt_pk_u8_f32 v5, vcc_hi, 0xaf123456, v255
// GFX13: v_cvt_pk_u8_f32 v5, vcc_hi, 0xaf123456, v255 ; encoding: [0x05,0x00,0x26,0xd6,0x6b,0xfe,0xfd,0x07,0x56,0x34,0x12,0xaf]

v_cvt_pk_u8_f32 v5, ttmp15, src_scc, ttmp15
// GFX13: v_cvt_pk_u8_f32 v5, ttmp15, src_scc, ttmp15 ; encoding: [0x05,0x00,0x26,0xd6,0x7b,0xfa,0xed,0x01]

v_cvt_pk_u8_f32 v5, m0, 0.5, m0
// GFX13: v_cvt_pk_u8_f32 v5, m0, 0.5, m0         ; encoding: [0x05,0x00,0x26,0xd6,0x7d,0xe0,0xf5,0x01]

v_cvt_pk_u8_f32 v5, exec_lo, -1, vcc_hi
// GFX13: v_cvt_pk_u8_f32 v5, exec_lo, -1, vcc_hi ; encoding: [0x05,0x00,0x26,0xd6,0x7e,0x82,0xad,0x01]

v_cvt_pk_u8_f32 v5, exec_hi, null, vcc_lo
// GFX13: v_cvt_pk_u8_f32 v5, exec_hi, null, vcc_lo ; encoding: [0x05,0x00,0x26,0xd6,0x7f,0xf8,0xa8,0x01]

v_cvt_pk_u8_f32 v5, null, exec_lo, 0xaf123456
// GFX13: v_cvt_pk_u8_f32 v5, null, exec_lo, 0xaf123456 ; encoding: [0x05,0x00,0x26,0xd6,0x7c,0xfc,0xfc,0x03,0x56,0x34,0x12,0xaf]

v_cvt_pk_u8_f32 v5, -1, exec_hi, src_scc
// GFX13: v_cvt_pk_u8_f32 v5, -1, exec_hi, src_scc ; encoding: [0x05,0x00,0x26,0xd6,0xc1,0xfe,0xf4,0x03]

v_cvt_pk_u8_f32 v5, 0.5, m0, 0.5
// GFX13: v_cvt_pk_u8_f32 v5, 0.5, m0, 0.5        ; encoding: [0x05,0x00,0x26,0xd6,0xf0,0xfa,0xc0,0x03]

v_cvt_pk_u8_f32 v5, src_scc, vcc_lo, -1
// GFX13: v_cvt_pk_u8_f32 v5, src_scc, vcc_lo, -1 ; encoding: [0x05,0x00,0x26,0xd6,0xfd,0xd4,0x04,0x03]

v_cvt_pk_u8_f32 v255, -|0xaf123456|, vcc_hi, null
// GFX13: v_cvt_pk_u8_f32 v255, -|0xaf123456|, vcc_hi, null ; encoding: [0xff,0x01,0x26,0xd6,0xff,0xd6,0xf0,0x21,0x56,0x34,0x12,0xaf]

v_cvt_pk_norm_i16_f16 v5, v1, v2
// GFX13: v_cvt_pk_norm_i16_f16 v5, v1, v2        ; encoding: [0x05,0x00,0x12,0xd7,0x01,0x05,0x02,0x02]

v_cvt_pk_norm_i16_f16 v5, v255, v255
// GFX13: v_cvt_pk_norm_i16_f16 v5, v255, v255    ; encoding: [0x05,0x00,0x12,0xd7,0xff,0xff,0x03,0x02]

v_cvt_pk_norm_i16_f16 v5, s1, s2
// GFX13: v_cvt_pk_norm_i16_f16 v5, s1, s2        ; encoding: [0x05,0x00,0x12,0xd7,0x01,0x04,0x00,0x02]

v_cvt_pk_norm_i16_f16 v5, s105, s105
// GFX13: v_cvt_pk_norm_i16_f16 v5, s105, s105    ; encoding: [0x05,0x00,0x12,0xd7,0x69,0xd2,0x00,0x02]

v_cvt_pk_norm_i16_f16 v5, vcc_lo, ttmp15
// GFX13: v_cvt_pk_norm_i16_f16 v5, vcc_lo, ttmp15 ; encoding: [0x05,0x00,0x12,0xd7,0x6a,0xf6,0x00,0x02]

v_cvt_pk_norm_i16_f16 v5, vcc_hi, 0xfe0b
// GFX13: v_cvt_pk_norm_i16_f16 v5, vcc_hi, 0xfe0b ; encoding: [0x05,0x00,0x12,0xd7,0x6b,0xfe,0x01,0x02,0x0b,0xfe,0x00,0x00]

v_cvt_pk_norm_i16_f16 v5, ttmp15, src_scc
// GFX13: v_cvt_pk_norm_i16_f16 v5, ttmp15, src_scc ; encoding: [0x05,0x00,0x12,0xd7,0x7b,0xfa,0x01,0x02]

v_cvt_pk_norm_i16_f16 v5, m0, 0.5
// GFX13: v_cvt_pk_norm_i16_f16 v5, m0, 0.5       ; encoding: [0x05,0x00,0x12,0xd7,0x7d,0xe0,0x01,0x02]

v_cvt_pk_norm_i16_f16 v5, exec_lo, -1
// GFX13: v_cvt_pk_norm_i16_f16 v5, exec_lo, -1   ; encoding: [0x05,0x00,0x12,0xd7,0x7e,0x82,0x01,0x02]

v_cvt_pk_norm_i16_f16 v5, |exec_hi|, null
// GFX13: v_cvt_pk_norm_i16_f16 v5, |exec_hi|, null ; encoding: [0x05,0x01,0x12,0xd7,0x7f,0xf8,0x00,0x02]

v_cvt_pk_norm_i16_f16 v5, null, exec_lo
// GFX13: v_cvt_pk_norm_i16_f16 v5, null, exec_lo ; encoding: [0x05,0x00,0x12,0xd7,0x7c,0xfc,0x00,0x02]

v_cvt_pk_norm_i16_f16 v5, -1, exec_hi
// GFX13: v_cvt_pk_norm_i16_f16 v5, -1, exec_hi   ; encoding: [0x05,0x00,0x12,0xd7,0xc1,0xfe,0x00,0x02]

v_cvt_pk_norm_i16_f16 v5, 0.5, -m0 op_sel:[0,0,0]
// GFX13: v_cvt_pk_norm_i16_f16 v5, 0.5, -m0      ; encoding: [0x05,0x00,0x12,0xd7,0xf0,0xfa,0x00,0x42]

v_cvt_pk_norm_i16_f16 v5, -src_scc, |vcc_lo| op_sel:[1,0,0]
// GFX13: v_cvt_pk_norm_i16_f16 v5, -src_scc, |vcc_lo| op_sel:[1,0,0] ; encoding: [0x05,0x0a,0x12,0xd7,0xfd,0xd4,0x00,0x22]

v_cvt_pk_norm_i16_f16 v255, -|0xfe0b|, -|vcc_hi| op_sel:[0,1,0]
// GFX13: v_cvt_pk_norm_i16_f16 v255, -|0xfe0b|, -|vcc_hi| op_sel:[0,1,0] ; encoding: [0xff,0x13,0x12,0xd7,0xff,0xd6,0x00,0x62,0x0b,0xfe,0x00,0x00]

v_cvt_pk_norm_i16_f32 v5, v1, v2
// GFX13: v_cvt_pk_norm_i16_f32 v5, v1, v2        ; encoding: [0x05,0x00,0x68,0xd7,0x01,0x05,0x02,0x02]

v_cvt_pk_norm_i16_f32 v5, v255, v255
// GFX13: v_cvt_pk_norm_i16_f32 v5, v255, v255    ; encoding: [0x05,0x00,0x68,0xd7,0xff,0xff,0x03,0x02]

v_cvt_pk_norm_i16_f32 v5, s1, s2
// GFX13: v_cvt_pk_norm_i16_f32 v5, s1, s2        ; encoding: [0x05,0x00,0x68,0xd7,0x01,0x04,0x00,0x02]

v_cvt_pk_norm_i16_f32 v5, s105, s105
// GFX13: v_cvt_pk_norm_i16_f32 v5, s105, s105    ; encoding: [0x05,0x00,0x68,0xd7,0x69,0xd2,0x00,0x02]

v_cvt_pk_norm_i16_f32 v5, vcc_lo, ttmp15
// GFX13: v_cvt_pk_norm_i16_f32 v5, vcc_lo, ttmp15 ; encoding: [0x05,0x00,0x68,0xd7,0x6a,0xf6,0x00,0x02]

v_cvt_pk_norm_i16_f32 v5, vcc_hi, 0xaf123456
// GFX13: v_cvt_pk_norm_i16_f32 v5, vcc_hi, 0xaf123456 ; encoding: [0x05,0x00,0x68,0xd7,0x6b,0xfe,0x01,0x02,0x56,0x34,0x12,0xaf]

v_cvt_pk_norm_i16_f32 v5, ttmp15, src_scc
// GFX13: v_cvt_pk_norm_i16_f32 v5, ttmp15, src_scc ; encoding: [0x05,0x00,0x68,0xd7,0x7b,0xfa,0x01,0x02]

v_cvt_pk_norm_i16_f32 v5, m0, 0.5
// GFX13: v_cvt_pk_norm_i16_f32 v5, m0, 0.5       ; encoding: [0x05,0x00,0x68,0xd7,0x7d,0xe0,0x01,0x02]

v_cvt_pk_norm_i16_f32 v5, exec_lo, -1
// GFX13: v_cvt_pk_norm_i16_f32 v5, exec_lo, -1   ; encoding: [0x05,0x00,0x68,0xd7,0x7e,0x82,0x01,0x02]

v_cvt_pk_norm_i16_f32 v5, |exec_hi|, null
// GFX13: v_cvt_pk_norm_i16_f32 v5, |exec_hi|, null ; encoding: [0x05,0x01,0x68,0xd7,0x7f,0xf8,0x00,0x02]

v_cvt_pk_norm_i16_f32 v5, null, exec_lo
// GFX13: v_cvt_pk_norm_i16_f32 v5, null, exec_lo ; encoding: [0x05,0x00,0x68,0xd7,0x7c,0xfc,0x00,0x02]

v_cvt_pk_norm_i16_f32 v5, -1, exec_hi
// GFX13: v_cvt_pk_norm_i16_f32 v5, -1, exec_hi   ; encoding: [0x05,0x00,0x68,0xd7,0xc1,0xfe,0x00,0x02]

v_cvt_pk_norm_i16_f32 v5, 0.5, -m0
// GFX13: v_cvt_pk_norm_i16_f32 v5, 0.5, -m0      ; encoding: [0x05,0x00,0x68,0xd7,0xf0,0xfa,0x00,0x42]

v_cvt_pk_norm_i16_f32 v5, -src_scc, |vcc_lo|
// GFX13: v_cvt_pk_norm_i16_f32 v5, -src_scc, |vcc_lo| ; encoding: [0x05,0x02,0x68,0xd7,0xfd,0xd4,0x00,0x22]

v_cvt_pk_norm_i16_f32 v255, -|0xaf123456|, -|vcc_hi|
// GFX13: v_cvt_pk_norm_i16_f32 v255, -|0xaf123456|, -|vcc_hi| ; encoding: [0xff,0x03,0x68,0xd7,0xff,0xd6,0x00,0x62,0x56,0x34,0x12,0xaf]

v_cvt_pk_norm_u16_f16 v5, v1, v2
// GFX13: v_cvt_pk_norm_u16_f16 v5, v1, v2        ; encoding: [0x05,0x00,0x13,0xd7,0x01,0x05,0x02,0x02]

v_cvt_pk_norm_u16_f16 v5, v255, v255
// GFX13: v_cvt_pk_norm_u16_f16 v5, v255, v255    ; encoding: [0x05,0x00,0x13,0xd7,0xff,0xff,0x03,0x02]

v_cvt_pk_norm_u16_f16 v5, s1, s2
// GFX13: v_cvt_pk_norm_u16_f16 v5, s1, s2        ; encoding: [0x05,0x00,0x13,0xd7,0x01,0x04,0x00,0x02]

v_cvt_pk_norm_u16_f16 v5, s105, s105
// GFX13: v_cvt_pk_norm_u16_f16 v5, s105, s105    ; encoding: [0x05,0x00,0x13,0xd7,0x69,0xd2,0x00,0x02]

v_cvt_pk_norm_u16_f16 v5, vcc_lo, ttmp15
// GFX13: v_cvt_pk_norm_u16_f16 v5, vcc_lo, ttmp15 ; encoding: [0x05,0x00,0x13,0xd7,0x6a,0xf6,0x00,0x02]

v_cvt_pk_norm_u16_f16 v5, vcc_hi, 0xfe0b
// GFX13: v_cvt_pk_norm_u16_f16 v5, vcc_hi, 0xfe0b ; encoding: [0x05,0x00,0x13,0xd7,0x6b,0xfe,0x01,0x02,0x0b,0xfe,0x00,0x00]

v_cvt_pk_norm_u16_f16 v5, ttmp15, src_scc
// GFX13: v_cvt_pk_norm_u16_f16 v5, ttmp15, src_scc ; encoding: [0x05,0x00,0x13,0xd7,0x7b,0xfa,0x01,0x02]

v_cvt_pk_norm_u16_f16 v5, m0, 0.5
// GFX13: v_cvt_pk_norm_u16_f16 v5, m0, 0.5       ; encoding: [0x05,0x00,0x13,0xd7,0x7d,0xe0,0x01,0x02]

v_cvt_pk_norm_u16_f16 v5, exec_lo, -1
// GFX13: v_cvt_pk_norm_u16_f16 v5, exec_lo, -1   ; encoding: [0x05,0x00,0x13,0xd7,0x7e,0x82,0x01,0x02]

v_cvt_pk_norm_u16_f16 v5, |exec_hi|, null
// GFX13: v_cvt_pk_norm_u16_f16 v5, |exec_hi|, null ; encoding: [0x05,0x01,0x13,0xd7,0x7f,0xf8,0x00,0x02]

v_cvt_pk_norm_u16_f16 v5, null, exec_lo
// GFX13: v_cvt_pk_norm_u16_f16 v5, null, exec_lo ; encoding: [0x05,0x00,0x13,0xd7,0x7c,0xfc,0x00,0x02]

v_cvt_pk_norm_u16_f16 v5, -1, exec_hi
// GFX13: v_cvt_pk_norm_u16_f16 v5, -1, exec_hi   ; encoding: [0x05,0x00,0x13,0xd7,0xc1,0xfe,0x00,0x02]

v_cvt_pk_norm_u16_f16 v5, 0.5, -m0 op_sel:[0,0,0]
// GFX13: v_cvt_pk_norm_u16_f16 v5, 0.5, -m0      ; encoding: [0x05,0x00,0x13,0xd7,0xf0,0xfa,0x00,0x42]

v_cvt_pk_norm_u16_f16 v5, -src_scc, |vcc_lo| op_sel:[1,0,0]
// GFX13: v_cvt_pk_norm_u16_f16 v5, -src_scc, |vcc_lo| op_sel:[1,0,0] ; encoding: [0x05,0x0a,0x13,0xd7,0xfd,0xd4,0x00,0x22]

v_cvt_pk_norm_u16_f16 v255, -|0xfe0b|, -|vcc_hi| op_sel:[0,1,0]
// GFX13: v_cvt_pk_norm_u16_f16 v255, -|0xfe0b|, -|vcc_hi| op_sel:[0,1,0] ; encoding: [0xff,0x13,0x13,0xd7,0xff,0xd6,0x00,0x62,0x0b,0xfe,0x00,0x00]

v_cvt_pk_norm_u16_f32 v5, v1, v2
// GFX13: v_cvt_pk_norm_u16_f32 v5, v1, v2        ; encoding: [0x05,0x00,0x69,0xd7,0x01,0x05,0x02,0x02]

v_cvt_pk_norm_u16_f32 v5, v255, v255
// GFX13: v_cvt_pk_norm_u16_f32 v5, v255, v255    ; encoding: [0x05,0x00,0x69,0xd7,0xff,0xff,0x03,0x02]

v_cvt_pk_norm_u16_f32 v5, s1, s2
// GFX13: v_cvt_pk_norm_u16_f32 v5, s1, s2        ; encoding: [0x05,0x00,0x69,0xd7,0x01,0x04,0x00,0x02]

v_cvt_pk_norm_u16_f32 v5, s105, s105
// GFX13: v_cvt_pk_norm_u16_f32 v5, s105, s105    ; encoding: [0x05,0x00,0x69,0xd7,0x69,0xd2,0x00,0x02]

v_cvt_pk_norm_u16_f32 v5, vcc_lo, ttmp15
// GFX13: v_cvt_pk_norm_u16_f32 v5, vcc_lo, ttmp15 ; encoding: [0x05,0x00,0x69,0xd7,0x6a,0xf6,0x00,0x02]

v_cvt_pk_norm_u16_f32 v5, vcc_hi, 0xaf123456
// GFX13: v_cvt_pk_norm_u16_f32 v5, vcc_hi, 0xaf123456 ; encoding: [0x05,0x00,0x69,0xd7,0x6b,0xfe,0x01,0x02,0x56,0x34,0x12,0xaf]

v_cvt_pk_norm_u16_f32 v5, ttmp15, src_scc
// GFX13: v_cvt_pk_norm_u16_f32 v5, ttmp15, src_scc ; encoding: [0x05,0x00,0x69,0xd7,0x7b,0xfa,0x01,0x02]

v_cvt_pk_norm_u16_f32 v5, m0, 0.5
// GFX13: v_cvt_pk_norm_u16_f32 v5, m0, 0.5       ; encoding: [0x05,0x00,0x69,0xd7,0x7d,0xe0,0x01,0x02]

v_cvt_pk_norm_u16_f32 v5, exec_lo, -1
// GFX13: v_cvt_pk_norm_u16_f32 v5, exec_lo, -1   ; encoding: [0x05,0x00,0x69,0xd7,0x7e,0x82,0x01,0x02]

v_cvt_pk_norm_u16_f32 v5, |exec_hi|, null
// GFX13: v_cvt_pk_norm_u16_f32 v5, |exec_hi|, null ; encoding: [0x05,0x01,0x69,0xd7,0x7f,0xf8,0x00,0x02]

v_cvt_pk_norm_u16_f32 v5, null, exec_lo
// GFX13: v_cvt_pk_norm_u16_f32 v5, null, exec_lo ; encoding: [0x05,0x00,0x69,0xd7,0x7c,0xfc,0x00,0x02]

v_cvt_pk_norm_u16_f32 v5, -1, exec_hi
// GFX13: v_cvt_pk_norm_u16_f32 v5, -1, exec_hi   ; encoding: [0x05,0x00,0x69,0xd7,0xc1,0xfe,0x00,0x02]

v_cvt_pk_norm_u16_f32 v5, 0.5, -m0
// GFX13: v_cvt_pk_norm_u16_f32 v5, 0.5, -m0      ; encoding: [0x05,0x00,0x69,0xd7,0xf0,0xfa,0x00,0x42]

v_cvt_pk_norm_u16_f32 v5, -src_scc, |vcc_lo|
// GFX13: v_cvt_pk_norm_u16_f32 v5, -src_scc, |vcc_lo| ; encoding: [0x05,0x02,0x69,0xd7,0xfd,0xd4,0x00,0x22]

v_cvt_pk_norm_u16_f32 v255, -|0xaf123456|, -|vcc_hi|
// GFX13: v_cvt_pk_norm_u16_f32 v255, -|0xaf123456|, -|vcc_hi| ; encoding: [0xff,0x03,0x69,0xd7,0xff,0xd6,0x00,0x62,0x56,0x34,0x12,0xaf]

v_div_fixup_f16 v5, v1, v2, s3
// GFX13: v_div_fixup_f16 v5, v1, v2, s3          ; encoding: [0x05,0x00,0x5f,0xd7,0x01,0x05,0x0e,0x00]

v_div_fixup_f16 v5, v255, s2, s105
// GFX13: v_div_fixup_f16 v5, v255, s2, s105      ; encoding: [0x05,0x00,0x5f,0xd7,0xff,0x05,0xa4,0x01]

v_div_fixup_f16 v5, s1, v255, exec_hi
// GFX13: v_div_fixup_f16 v5, s1, v255, exec_hi   ; encoding: [0x05,0x00,0x5f,0xd7,0x01,0xfe,0xff,0x01]

v_div_fixup_f16 v5, s105, s105, exec_lo
// GFX13: v_div_fixup_f16 v5, s105, s105, exec_lo ; encoding: [0x05,0x00,0x5f,0xd7,0x69,0xd2,0xf8,0x01]

v_div_fixup_f16 v5, vcc_lo, ttmp15, v3
// GFX13: v_div_fixup_f16 v5, vcc_lo, ttmp15, v3  ; encoding: [0x05,0x00,0x5f,0xd7,0x6a,0xf6,0x0c,0x04]

v_div_fixup_f16 v5, vcc_hi, 0xfe0b, v255
// GFX13: v_div_fixup_f16 v5, vcc_hi, 0xfe0b, v255 ; encoding: [0x05,0x00,0x5f,0xd7,0x6b,0xfe,0xfd,0x07,0x0b,0xfe,0x00,0x00]

v_div_fixup_f16 v5, -|ttmp15|, -|src_scc|, -|ttmp15|
// GFX13: v_div_fixup_f16 v5, -|ttmp15|, -|src_scc|, -|ttmp15| ; encoding: [0x05,0x07,0x5f,0xd7,0x7b,0xfa,0xed,0xe1]

v_div_fixup_f16 v5, m0, 0.5, m0
// GFX13: v_div_fixup_f16 v5, m0, 0.5, m0         ; encoding: [0x05,0x00,0x5f,0xd7,0x7d,0xe0,0xf5,0x01]

v_div_fixup_f16 v5, |exec_lo|, -1, vcc_hi
// GFX13: v_div_fixup_f16 v5, |exec_lo|, -1, vcc_hi ; encoding: [0x05,0x01,0x5f,0xd7,0x7e,0x82,0xad,0x01]

v_div_fixup_f16 v5, -|exec_hi|, null, -|vcc_lo| op_sel:[1,1,1,1]
// GFX13: v_div_fixup_f16 v5, -|exec_hi|, null, -|vcc_lo| op_sel:[1,1,1,1] ; encoding: [0x05,0x7d,0x5f,0xd7,0x7f,0xf8,0xa8,0xa1]

v_div_fixup_f16 v5, null, exec_lo, -|0xfe0b| op_sel:[0,0,0,0]
// GFX13: v_div_fixup_f16 v5, null, exec_lo, -|0xfe0b| ; encoding: [0x05,0x04,0x5f,0xd7,0x7c,0xfc,0xfc,0x83,0x0b,0xfe,0x00,0x00]

v_div_fixup_f16 v5, -1, -|exec_hi|, -|src_scc| op_sel:[1,0,0,0]
// GFX13: v_div_fixup_f16 v5, -1, -|exec_hi|, -|src_scc| op_sel:[1,0,0,0] ; encoding: [0x05,0x0e,0x5f,0xd7,0xc1,0xfe,0xf4,0xc3]

v_div_fixup_f16 v5, 0.5, -m0, 0.5 op_sel:[0,1,0,0]
// GFX13: v_div_fixup_f16 v5, 0.5, -m0, 0.5 op_sel:[0,1,0,0] ; encoding: [0x05,0x10,0x5f,0xd7,0xf0,0xfa,0xc0,0x43]

v_div_fixup_f16 v5, -src_scc, |vcc_lo|, -1 op_sel:[0,0,1,0]
// GFX13: v_div_fixup_f16 v5, -src_scc, |vcc_lo|, -1 op_sel:[0,0,1,0] ; encoding: [0x05,0x22,0x5f,0xd7,0xfd,0xd4,0x04,0x23]

v_div_fixup_f16 v255, -|0xfe0b|, -|vcc_hi|, null op_sel:[0,0,0,1] clamp
// GFX13: v_div_fixup_f16 v255, -|0xfe0b|, -|vcc_hi|, null op_sel:[0,0,0,1] clamp ; encoding: [0xff,0xc3,0x5f,0xd7,0xff,0xd6,0xf0,0x61,0x0b,0xfe,0x00,0x00]

v_div_fixup_f32 v5, v1, v2, s3
// GFX13: v_div_fixup_f32 v5, v1, v2, s3          ; encoding: [0x05,0x00,0x27,0xd6,0x01,0x05,0x0e,0x00]

v_div_fixup_f32 v5, v255, s2, s105
// GFX13: v_div_fixup_f32 v5, v255, s2, s105      ; encoding: [0x05,0x00,0x27,0xd6,0xff,0x05,0xa4,0x01]

v_div_fixup_f32 v5, s1, v255, exec_hi
// GFX13: v_div_fixup_f32 v5, s1, v255, exec_hi   ; encoding: [0x05,0x00,0x27,0xd6,0x01,0xfe,0xff,0x01]

v_div_fixup_f32 v5, s105, s105, exec_lo
// GFX13: v_div_fixup_f32 v5, s105, s105, exec_lo ; encoding: [0x05,0x00,0x27,0xd6,0x69,0xd2,0xf8,0x01]

v_div_fixup_f32 v5, vcc_lo, ttmp15, v3
// GFX13: v_div_fixup_f32 v5, vcc_lo, ttmp15, v3  ; encoding: [0x05,0x00,0x27,0xd6,0x6a,0xf6,0x0c,0x04]

v_div_fixup_f32 v5, vcc_hi, 0xaf123456, v255
// GFX13: v_div_fixup_f32 v5, vcc_hi, 0xaf123456, v255 ; encoding: [0x05,0x00,0x27,0xd6,0x6b,0xfe,0xfd,0x07,0x56,0x34,0x12,0xaf]

v_div_fixup_f32 v5, -|ttmp15|, -|src_scc|, -|ttmp15|
// GFX13: v_div_fixup_f32 v5, -|ttmp15|, -|src_scc|, -|ttmp15| ; encoding: [0x05,0x07,0x27,0xd6,0x7b,0xfa,0xed,0xe1]

v_div_fixup_f32 v5, m0, 0.5, m0
// GFX13: v_div_fixup_f32 v5, m0, 0.5, m0         ; encoding: [0x05,0x00,0x27,0xd6,0x7d,0xe0,0xf5,0x01]

v_div_fixup_f32 v5, |exec_lo|, -1, vcc_hi
// GFX13: v_div_fixup_f32 v5, |exec_lo|, -1, vcc_hi ; encoding: [0x05,0x01,0x27,0xd6,0x7e,0x82,0xad,0x01]

v_div_fixup_f32 v5, -|exec_hi|, null, -|vcc_lo|
// GFX13: v_div_fixup_f32 v5, -|exec_hi|, null, -|vcc_lo| ; encoding: [0x05,0x05,0x27,0xd6,0x7f,0xf8,0xa8,0xa1]

v_div_fixup_f32 v5, null, exec_lo, -|0xaf123456|
// GFX13: v_div_fixup_f32 v5, null, exec_lo, -|0xaf123456| ; encoding: [0x05,0x04,0x27,0xd6,0x7c,0xfc,0xfc,0x83,0x56,0x34,0x12,0xaf]

v_div_fixup_f32 v5, -1, -|exec_hi|, -|src_scc|
// GFX13: v_div_fixup_f32 v5, -1, -|exec_hi|, -|src_scc| ; encoding: [0x05,0x06,0x27,0xd6,0xc1,0xfe,0xf4,0xc3]

v_div_fixup_f32 v5, 0.5, -m0, 0.5 mul:2
// GFX13: v_div_fixup_f32 v5, 0.5, -m0, 0.5 mul:2 ; encoding: [0x05,0x00,0x27,0xd6,0xf0,0xfa,0xc0,0x4b]

v_div_fixup_f32 v5, -src_scc, |vcc_lo|, -1 mul:4
// GFX13: v_div_fixup_f32 v5, -src_scc, |vcc_lo|, -1 mul:4 ; encoding: [0x05,0x02,0x27,0xd6,0xfd,0xd4,0x04,0x33]

v_div_fixup_f32 v255, -|0xaf123456|, -|vcc_hi|, null clamp div:2
// GFX13: v_div_fixup_f32 v255, -|0xaf123456|, -|vcc_hi|, null clamp div:2 ; encoding: [0xff,0x83,0x27,0xd6,0xff,0xd6,0xf0,0x79,0x56,0x34,0x12,0xaf]

v_div_fixup_f64 v[5:6], v[1:2], v[2:3], v[3:4]
// GFX13: v_div_fixup_f64 v[5:6], v[1:2], v[2:3], v[3:4] ; encoding: [0x05,0x00,0x28,0xd6,0x01,0x05,0x0e,0x04]

v_div_fixup_f64 v[5:6], v[254:255], v[254:255], s[6:7]
// GFX13: v_div_fixup_f64 v[5:6], v[254:255], v[254:255], s[6:7] ; encoding: [0x05,0x00,0x28,0xd6,0xfe,0xfd,0x1b,0x00]
	;; [unrolled: 3-line block ×3, first 2 shown]

v_div_fixup_f64 v[5:6], -|s[104:105]|, s[104:105], -|s[104:105]|
// GFX13: v_div_fixup_f64 v[5:6], -|s[104:105]|, s[104:105], -|s[104:105]| ; encoding: [0x05,0x05,0x28,0xd6,0x68,0xd0,0xa0,0xa1]

v_div_fixup_f64 v[5:6], vcc, -|ttmp[14:15]|, -|ttmp[14:15]|
// GFX13: v_div_fixup_f64 v[5:6], vcc, -|ttmp[14:15]|, -|ttmp[14:15]| ; encoding: [0x05,0x06,0x28,0xd6,0x6a,0xf4,0xe8,0xc1]

v_div_fixup_f64 v[5:6], -|ttmp[14:15]|, 0xaf123456, null
// GFX13: v_div_fixup_f64 v[5:6], -|ttmp[14:15]|, 0xaf123456, null ; encoding: [0x05,0x01,0x28,0xd6,0x7a,0xfe,0xf1,0x21,0x56,0x34,0x12,0xaf]

v_div_fixup_f64 v[5:6], -|exec|, -|src_scc|, -|exec|
// GFX13: v_div_fixup_f64 v[5:6], -|exec|, -|src_scc|, -|exec| ; encoding: [0x05,0x07,0x28,0xd6,0x7e,0xfa,0xf9,0xe1]

v_div_fixup_f64 v[5:6], null, 0.5, vcc
// GFX13: v_div_fixup_f64 v[5:6], null, 0.5, vcc  ; encoding: [0x05,0x00,0x28,0xd6,0x7c,0xe0,0xa9,0x01]

v_div_fixup_f64 v[5:6], -1, -1, 0xaf123456
// GFX13: v_div_fixup_f64 v[5:6], -1, -1, 0xaf123456 ; encoding: [0x05,0x00,0x28,0xd6,0xc1,0x82,0xfd,0x03,0x56,0x34,0x12,0xaf]

v_div_fixup_f64 v[5:6], 0.5, null, -|src_scc| mul:2
// GFX13: v_div_fixup_f64 v[5:6], 0.5, null, -|src_scc| mul:2 ; encoding: [0x05,0x04,0x28,0xd6,0xf0,0xf8,0xf4,0x8b]

v_div_fixup_f64 v[5:6], -|src_scc|, -|exec|, 0.5 mul:4
// GFX13: v_div_fixup_f64 v[5:6], -|src_scc|, -|exec|, 0.5 mul:4 ; encoding: [0x05,0x03,0x28,0xd6,0xfd,0xfc,0xc0,0x73]

v_div_fixup_f64 v[254:255], 0xaf123456, -|vcc|, -1 clamp div:2
// GFX13: v_div_fixup_f64 v[254:255], 0xaf123456, -|vcc|, -1 clamp div:2 ; encoding: [0xfe,0x82,0x28,0xd6,0xff,0xd4,0x04,0x5b,0x56,0x34,0x12,0xaf]

v_div_fmas_f32 v5, vcc_lo, v2, vcc_lo
// GFX13: v_div_fmas_f32 v5, vcc_lo, v2, vcc_lo   ; encoding: [0x05,0x00,0x37,0xd6,0x6a,0x04,0xaa,0x01]

v_div_fmas_f32 v5, ttmp15, ttmp15, ttmp15
// GFX13: v_div_fmas_f32 v5, ttmp15, ttmp15, ttmp15 ; encoding: [0x05,0x00,0x37,0xd6,0x7b,0xf6,0xec,0x01]

v_div_fmas_f32 v5, -|m0|, -|v255|, v3
// GFX13: v_div_fmas_f32 v5, -|m0|, -|v255|, v3   ; encoding: [0x05,0x03,0x37,0xd6,0x7d,0xfe,0x0f,0x64]

v_div_fmas_f32 v5, -|exec_lo|, -|exec_lo|, -|exec_lo|
// GFX13: v_div_fmas_f32 v5, -|exec_lo|, -|exec_lo|, -|exec_lo| ; encoding: [0x05,0x07,0x37,0xd6,0x7e,0xfc,0xf8,0xe1]

v_div_fmas_f32 v5, -|exec_hi|, 0.5, -|v255|
// GFX13: v_div_fmas_f32 v5, -|exec_hi|, 0.5, -|v255| ; encoding: [0x05,0x05,0x37,0xd6,0x7f,0xe0,0xfd,0xa7]

v_div_fmas_f32 v5, null, exec_hi, -|exec_hi|
// GFX13: v_div_fmas_f32 v5, null, exec_hi, -|exec_hi| ; encoding: [0x05,0x04,0x37,0xd6,0x7c,0xfe,0xfc,0x81]

v_div_fmas_f32 v5, -1, -|m0|, -|m0|
// GFX13: v_div_fmas_f32 v5, -1, -|m0|, -|m0|     ; encoding: [0x05,0x06,0x37,0xd6,0xc1,0xfa,0xf4,0xc1]

v_div_fmas_f32 v5, 0.5, -|vcc_lo|, 0.5 mul:2
// GFX13: v_div_fmas_f32 v5, 0.5, -|vcc_lo|, 0.5 mul:2 ; encoding: [0x05,0x02,0x37,0xd6,0xf0,0xd4,0xc0,0x4b]

v_div_fmas_f32 v5, vcc_lo, v2, v3
// GFX13: v_div_fmas_f32 v5, vcc_lo, v2, v3       ; encoding: [0x05,0x00,0x37,0xd6,0x6a,0x04,0x0e,0x04]

v_div_fmas_f32 v5, vcc_hi, v255, vcc_hi
// GFX13: v_div_fmas_f32 v5, vcc_hi, v255, vcc_hi ; encoding: [0x05,0x00,0x37,0xd6,0x6b,0xfe,0xaf,0x01]

v_div_fmas_f32 v5, -|ttmp15|, -|ttmp15|, ttmp15
// GFX13: v_div_fmas_f32 v5, -|ttmp15|, -|ttmp15|, ttmp15 ; encoding: [0x05,0x03,0x37,0xd6,0x7b,0xf6,0xec,0x61]

v_div_fmas_f32 v5, m0, 0.5, v255
// GFX13: v_div_fmas_f32 v5, m0, 0.5, v255        ; encoding: [0x05,0x00,0x37,0xd6,0x7d,0xe0,0xfd,0x07]

v_div_fmas_f32 v5, -|exec_lo|, exec_lo, -|exec_lo|
// GFX13: v_div_fmas_f32 v5, -|exec_lo|, exec_lo, -|exec_lo| ; encoding: [0x05,0x05,0x37,0xd6,0x7e,0xfc,0xf8,0xa1]

v_div_fmas_f32 v5, -|exec_hi|, -|exec_hi|, -|exec_hi|
// GFX13: v_div_fmas_f32 v5, -|exec_hi|, -|exec_hi|, -|exec_hi| ; encoding: [0x05,0x07,0x37,0xd6,0x7f,0xfe,0xfc,0xe1]

v_div_fmas_f32 v5, null, m0, -|m0|
// GFX13: v_div_fmas_f32 v5, null, m0, -|m0|      ; encoding: [0x05,0x04,0x37,0xd6,0x7c,0xfa,0xf4,0x81]

v_div_fmas_f32 v5, -1, -|vcc_lo|, -|vcc_lo|
// GFX13: v_div_fmas_f32 v5, -1, -|vcc_lo|, -|vcc_lo| ; encoding: [0x05,0x06,0x37,0xd6,0xc1,0xd4,0xa8,0xc1]

v_div_fmas_f32 v5, 0.5, -|vcc_hi|, 0.5 mul:2
// GFX13: v_div_fmas_f32 v5, 0.5, -|vcc_hi|, 0.5 mul:2 ; encoding: [0x05,0x02,0x37,0xd6,0xf0,0xd6,0xc0,0x4b]

v_div_fmas_f32 v5, v1, 0xaf123456, 0xaf123456
// GFX13: v_div_fmas_f32 v5, v1, 0xaf123456, 0xaf123456 ; encoding: [0x05,0x00,0x37,0xd6,0x01,0xff,0xfd,0x03,0x56,0x34,0x12,0xaf]

v_div_fmas_f32 v5, v255, src_scc, src_scc
// GFX13: v_div_fmas_f32 v5, v255, src_scc, src_scc ; encoding: [0x05,0x00,0x37,0xd6,0xff,0xfb,0xf5,0x03]

v_div_fmas_f32 v5, s105, s105, s105
// GFX13: v_div_fmas_f32 v5, s105, s105, s105     ; encoding: [0x05,0x00,0x37,0xd6,0x69,0xd2,0xa4,0x01]

v_div_fmas_f32 v5, src_scc, -1, -1 mul:4
// GFX13: v_div_fmas_f32 v5, src_scc, -1, -1 mul:4 ; encoding: [0x05,0x00,0x37,0xd6,0xfd,0x82,0x05,0x13]

v_div_fmas_f32 v255, -|0xaf123456|, null, null clamp div:2
// GFX13: v_div_fmas_f32 v255, -|0xaf123456|, null, null clamp div:2 ; encoding: [0xff,0x81,0x37,0xd6,0xff,0xf8,0xf0,0x39,0x56,0x34,0x12,0xaf]

v_div_fmas_f64 v[5:6], v[1:2], 0xaf123456, 0xaf123456
// GFX13: v_div_fmas_f64 v[5:6], v[1:2], 0xaf123456, 0xaf123456 ; encoding: [0x05,0x00,0x38,0xd6,0x01,0xff,0xfd,0x03,0x56,0x34,0x12,0xaf]

v_div_fmas_f64 v[5:6], v[254:255], src_scc, v[3:4]
// GFX13: v_div_fmas_f64 v[5:6], v[254:255], src_scc, v[3:4] ; encoding: [0x05,0x00,0x38,0xd6,0xfe,0xfb,0x0d,0x04]

v_div_fmas_f64 v[5:6], s[104:105], |s[104:105]|, s[104:105]
// GFX13: v_div_fmas_f64 v[5:6], s[104:105], |s[104:105]|, s[104:105] ; encoding: [0x05,0x02,0x38,0xd6,0x68,0xd0,0xa0,0x01]

v_div_fmas_f64 v[5:6], -|vcc|, v[2:3], -|v[254:255]|
// GFX13: v_div_fmas_f64 v[5:6], -|vcc|, v[2:3], -|v[254:255]| ; encoding: [0x05,0x05,0x38,0xd6,0x6a,0x04,0xfa,0xa7]

v_div_fmas_f64 v[5:6], -|ttmp[14:15]|, -|ttmp[14:15]|, -|ttmp[14:15]|
// GFX13: v_div_fmas_f64 v[5:6], -|ttmp[14:15]|, -|ttmp[14:15]|, -|ttmp[14:15]| ; encoding: [0x05,0x07,0x38,0xd6,0x7a,0xf4,0xe8,0xe1]

v_div_fmas_f64 v[5:6], -|exec|, -|v[254:255]|, null
// GFX13: v_div_fmas_f64 v[5:6], -|exec|, -|v[254:255]|, null ; encoding: [0x05,0x03,0x38,0xd6,0x7e,0xfc,0xf3,0x61]

v_div_fmas_f64 v[5:6], null, 0.5, -src_scc
// GFX13: v_div_fmas_f64 v[5:6], null, 0.5, -src_scc ; encoding: [0x05,0x00,0x38,0xd6,0x7c,0xe0,0xf5,0x83]

v_div_fmas_f64 v[5:6], -1, -exec, |exec|
// GFX13: v_div_fmas_f64 v[5:6], -1, -exec, |exec| ; encoding: [0x05,0x04,0x38,0xd6,0xc1,0xfc,0xf8,0x41]

v_div_fmas_f64 v[5:6], 0.5, -|vcc|, -|vcc| mul:2
// GFX13: v_div_fmas_f64 v[5:6], 0.5, -|vcc|, -|vcc| mul:2 ; encoding: [0x05,0x06,0x38,0xd6,0xf0,0xd4,0xa8,0xc9]

v_div_fmas_f64 v[5:6], -|src_scc|, -1, 0.5 mul:4
// GFX13: v_div_fmas_f64 v[5:6], -|src_scc|, -1, 0.5 mul:4 ; encoding: [0x05,0x01,0x38,0xd6,0xfd,0x82,0xc1,0x33]

v_div_fmas_f64 v[254:255], 0xaf123456, null, -1 clamp div:2
// GFX13: v_div_fmas_f64 v[254:255], 0xaf123456, null, -1 clamp div:2 ; encoding: [0xfe,0x80,0x38,0xd6,0xff,0xf8,0x04,0x1b,0x56,0x34,0x12,0xaf]

v_div_scale_f32 v5, vcc_lo, v1, v2, s3
// W32: v_div_scale_f32 v5, vcc_lo, v1, v2, s3  ; encoding: [0x05,0x6a,0xfc,0xd6,0x01,0x05,0x0e,0x00]
// W64-ERR: :[[@LINE-2]]:21: error: invalid operand for instruction

v_div_scale_f32 v5, vcc_lo, v255, s2, s105
// W32: v_div_scale_f32 v5, vcc_lo, v255, s2, s105 ; encoding: [0x05,0x6a,0xfc,0xd6,0xff,0x05,0xa4,0x01]
// W64-ERR: :[[@LINE-2]]:21: error: invalid operand for instruction

v_div_scale_f32 v5, vcc_lo, s1, v255, exec_hi
// W32: v_div_scale_f32 v5, vcc_lo, s1, v255, exec_hi ; encoding: [0x05,0x6a,0xfc,0xd6,0x01,0xfe,0xff,0x01]
// W64-ERR: :[[@LINE-2]]:21: error: invalid operand for instruction

v_div_scale_f32 v5, vcc_lo, s105, s105, exec_lo
// W32: v_div_scale_f32 v5, vcc_lo, s105, s105, exec_lo ; encoding: [0x05,0x6a,0xfc,0xd6,0x69,0xd2,0xf8,0x01]
// W64-ERR: :[[@LINE-2]]:21: error: invalid operand for instruction

v_div_scale_f32 v5, vcc_lo, vcc_lo, ttmp15, v3
// W32: v_div_scale_f32 v5, vcc_lo, vcc_lo, ttmp15, v3 ; encoding: [0x05,0x6a,0xfc,0xd6,0x6a,0xf6,0x0c,0x04]
// W64-ERR: :[[@LINE-2]]:21: error: invalid operand for instruction

v_div_scale_f32 v5, vcc_lo, vcc_hi, 0xaf123456, v255
// W32: v_div_scale_f32 v5, vcc_lo, vcc_hi, 0xaf123456, v255 ; encoding: [0x05,0x6a,0xfc,0xd6,0x6b,0xfe,0xfd,0x07,0x56,0x34,0x12,0xaf]
// W64-ERR: :[[@LINE-2]]:21: error: invalid operand for instruction

v_div_scale_f32 v5, vcc_lo, -ttmp15, -src_scc, -ttmp15
// W32: v_div_scale_f32 v5, vcc_lo, -ttmp15, -src_scc, -ttmp15 ; encoding: [0x05,0x6a,0xfc,0xd6,0x7b,0xfa,0xed,0xe1]
// W64-ERR: :[[@LINE-2]]:21: error: invalid operand for instruction

v_div_scale_f32 v5, vcc_lo, m0, 0.5, m0
// W32: v_div_scale_f32 v5, vcc_lo, m0, 0.5, m0 ; encoding: [0x05,0x6a,0xfc,0xd6,0x7d,0xe0,0xf5,0x01]
// W64-ERR: :[[@LINE-2]]:21: error: invalid operand for instruction

v_div_scale_f32 v5, vcc_lo, exec_lo, -1, vcc_hi
// W32: v_div_scale_f32 v5, vcc_lo, exec_lo, -1, vcc_hi ; encoding: [0x05,0x6a,0xfc,0xd6,0x7e,0x82,0xad,0x01]
// W64-ERR: :[[@LINE-2]]:21: error: invalid operand for instruction

v_div_scale_f32 v5, vcc_lo, -exec_hi, null, -vcc_lo
// W32: v_div_scale_f32 v5, vcc_lo, -exec_hi, null, -vcc_lo ; encoding: [0x05,0x6a,0xfc,0xd6,0x7f,0xf8,0xa8,0xa1]
// W64-ERR: :[[@LINE-2]]:21: error: invalid operand for instruction

v_div_scale_f32 v5, vcc_lo, null, exec_lo, neg(0xaf123456)
// W32: v_div_scale_f32 v5, vcc_lo, null, exec_lo, neg(0xaf123456) ; encoding: [0x05,0x6a,0xfc,0xd6,0x7c,0xfc,0xfc,0x83,0x56,0x34,0x12,0xaf]
// W64-ERR: :[[@LINE-2]]:21: error: invalid operand for instruction

v_div_scale_f32 v5, vcc_lo, -1, -exec_hi, -src_scc
// W32: v_div_scale_f32 v5, vcc_lo, -1, -exec_hi, -src_scc ; encoding: [0x05,0x6a,0xfc,0xd6,0xc1,0xfe,0xf4,0xc3]
// W64-ERR: :[[@LINE-2]]:21: error: invalid operand for instruction

v_div_scale_f32 v5, vcc_lo, 0.5, -m0, 0.5 mul:2
// W32: v_div_scale_f32 v5, vcc_lo, 0.5, -m0, 0.5 mul:2 ; encoding: [0x05,0x6a,0xfc,0xd6,0xf0,0xfa,0xc0,0x4b]
// W64-ERR: :[[@LINE-2]]:21: error: invalid operand for instruction

v_div_scale_f32 v5, vcc_lo, -src_scc, vcc_lo, -1 mul:4
// W32: v_div_scale_f32 v5, vcc_lo, -src_scc, vcc_lo, -1 mul:4 ; encoding: [0x05,0x6a,0xfc,0xd6,0xfd,0xd4,0x04,0x33]
// W64-ERR: :[[@LINE-2]]:21: error: invalid operand for instruction

v_div_scale_f32 v255, vcc_lo, neg(0xaf123456), -vcc_hi, null clamp div:2
// W32: v_div_scale_f32 v255, vcc_lo, neg(0xaf123456), -vcc_hi, null clamp div:2 ; encoding: [0xff,0xea,0xfc,0xd6,0xff,0xd6,0xf0,0x79,0x56,0x34,0x12,0xaf]
// W64-ERR: :[[@LINE-2]]:23: error: invalid operand for instruction

v_div_scale_f32 v5, vcc, v1, v2, s3
// W32-ERR: :[[@LINE-1]]:21: error: invalid operand for instruction
// W64: v_div_scale_f32 v5, vcc, v1, v2, s3     ; encoding: [0x05,0x6a,0xfc,0xd6,0x01,0x05,0x0e,0x00]

v_div_scale_f32 v5, vcc, v255, s2, s105
// W32-ERR: :[[@LINE-1]]:21: error: invalid operand for instruction
// W64: v_div_scale_f32 v5, vcc, v255, s2, s105 ; encoding: [0x05,0x6a,0xfc,0xd6,0xff,0x05,0xa4,0x01]

v_div_scale_f32 v5, vcc, s1, v255, exec_hi
// W32-ERR: :[[@LINE-1]]:21: error: invalid operand for instruction
// W64: v_div_scale_f32 v5, vcc, s1, v255, exec_hi ; encoding: [0x05,0x6a,0xfc,0xd6,0x01,0xfe,0xff,0x01]

v_div_scale_f32 v5, vcc, s105, s105, exec_lo
// W32-ERR: :[[@LINE-1]]:21: error: invalid operand for instruction
// W64: v_div_scale_f32 v5, vcc, s105, s105, exec_lo ; encoding: [0x05,0x6a,0xfc,0xd6,0x69,0xd2,0xf8,0x01]

v_div_scale_f32 v5, vcc, vcc_lo, ttmp15, v3
// W32-ERR: :[[@LINE-1]]:21: error: invalid operand for instruction
// W64: v_div_scale_f32 v5, vcc, vcc_lo, ttmp15, v3 ; encoding: [0x05,0x6a,0xfc,0xd6,0x6a,0xf6,0x0c,0x04]

v_div_scale_f32 v5, vcc, vcc_hi, 0xaf123456, v255
// W32-ERR: :[[@LINE-1]]:21: error: invalid operand for instruction
// W64: v_div_scale_f32 v5, vcc, vcc_hi, 0xaf123456, v255 ; encoding: [0x05,0x6a,0xfc,0xd6,0x6b,0xfe,0xfd,0x07,0x56,0x34,0x12,0xaf]

v_div_scale_f32 v5, vcc, -ttmp15, -src_scc, -ttmp15
// W32-ERR: :[[@LINE-1]]:21: error: invalid operand for instruction
// W64: v_div_scale_f32 v5, vcc, -ttmp15, -src_scc, -ttmp15 ; encoding: [0x05,0x6a,0xfc,0xd6,0x7b,0xfa,0xed,0xe1]

v_div_scale_f32 v5, vcc, m0, 0.5, m0
// W32-ERR: :[[@LINE-1]]:21: error: invalid operand for instruction
// W64: v_div_scale_f32 v5, vcc, m0, 0.5, m0    ; encoding: [0x05,0x6a,0xfc,0xd6,0x7d,0xe0,0xf5,0x01]

v_div_scale_f32 v5, vcc, exec_lo, -1, vcc_hi
// W32-ERR: :[[@LINE-1]]:21: error: invalid operand for instruction
// W64: v_div_scale_f32 v5, vcc, exec_lo, -1, vcc_hi ; encoding: [0x05,0x6a,0xfc,0xd6,0x7e,0x82,0xad,0x01]

v_div_scale_f32 v5, vcc, -exec_hi, null, -vcc_lo
// W32-ERR: :[[@LINE-1]]:21: error: invalid operand for instruction
// W64: v_div_scale_f32 v5, vcc, -exec_hi, null, -vcc_lo ; encoding: [0x05,0x6a,0xfc,0xd6,0x7f,0xf8,0xa8,0xa1]

v_div_scale_f32 v5, vcc, null, exec_lo, neg(0xaf123456)
// W32-ERR: :[[@LINE-1]]:21: error: invalid operand for instruction
// W64: v_div_scale_f32 v5, vcc, null, exec_lo, neg(0xaf123456) ; encoding: [0x05,0x6a,0xfc,0xd6,0x7c,0xfc,0xfc,0x83,0x56,0x34,0x12,0xaf]

v_div_scale_f32 v5, vcc, -1, -exec_hi, -src_scc
// W32-ERR: :[[@LINE-1]]:21: error: invalid operand for instruction
// W64: v_div_scale_f32 v5, vcc, -1, -exec_hi, -src_scc ; encoding: [0x05,0x6a,0xfc,0xd6,0xc1,0xfe,0xf4,0xc3]

v_div_scale_f32 v5, vcc, 0.5, -m0, 0.5 mul:2
// W32-ERR: :[[@LINE-1]]:21: error: invalid operand for instruction
// W64: v_div_scale_f32 v5, vcc, 0.5, -m0, 0.5 mul:2 ; encoding: [0x05,0x6a,0xfc,0xd6,0xf0,0xfa,0xc0,0x4b]

v_div_scale_f32 v5, vcc, -src_scc, vcc_lo, -1 mul:4
// W32-ERR: :[[@LINE-1]]:21: error: invalid operand for instruction
// W64: v_div_scale_f32 v5, vcc, -src_scc, vcc_lo, -1 mul:4 ; encoding: [0x05,0x6a,0xfc,0xd6,0xfd,0xd4,0x04,0x33]

v_div_scale_f32 v255, vcc, neg(0xaf123456), -vcc_hi, null clamp div:2
// W32-ERR: :[[@LINE-1]]:23: error: invalid operand for instruction
// W64: v_div_scale_f32 v255, vcc, neg(0xaf123456), -vcc_hi, null clamp div:2 ; encoding: [0xff,0xea,0xfc,0xd6,0xff,0xd6,0xf0,0x79,0x56,0x34,0x12,0xaf]

v_div_scale_f64 v[5:6], vcc_lo, v[1:2], v[2:3], v[3:4]
// W32: v_div_scale_f64 v[5:6], vcc_lo, v[1:2], v[2:3], v[3:4] ; encoding: [0x05,0x6a,0xfd,0xd6,0x01,0x05,0x0e,0x04]
// W64-ERR: :[[@LINE-2]]:25: error: invalid operand for instruction

v_div_scale_f64 v[5:6], vcc_lo, v[254:255], v[254:255], s[6:7]
// W32: v_div_scale_f64 v[5:6], vcc_lo, v[254:255], v[254:255], s[6:7] ; encoding: [0x05,0x6a,0xfd,0xd6,0xfe,0xfd,0x1b,0x00]
// W64-ERR: :[[@LINE-2]]:25: error: invalid operand for instruction
	;; [unrolled: 4-line block ×3, first 2 shown]

v_div_scale_f64 v[5:6], vcc_lo, -s[104:105], s[104:105], -s[104:105]
// W32: v_div_scale_f64 v[5:6], vcc_lo, -s[104:105], s[104:105], -s[104:105] ; encoding: [0x05,0x6a,0xfd,0xd6,0x68,0xd0,0xa0,0xa1]
// W64-ERR: :[[@LINE-2]]:25: error: invalid operand for instruction

v_div_scale_f64 v[5:6], vcc_lo, vcc, -ttmp[14:15], -ttmp[14:15]
// W32: v_div_scale_f64 v[5:6], vcc_lo, vcc, -ttmp[14:15], -ttmp[14:15] ; encoding: [0x05,0x6a,0xfd,0xd6,0x6a,0xf4,0xe8,0xc1]
// W64-ERR: :[[@LINE-2]]:25: error: invalid operand for instruction

v_div_scale_f64 v[5:6], vcc_lo, -ttmp[14:15], 0xaf123456, null
// W32: v_div_scale_f64 v[5:6], vcc_lo, -ttmp[14:15], 0xaf123456, null ; encoding: [0x05,0x6a,0xfd,0xd6,0x7a,0xfe,0xf1,0x21,0x56,0x34,0x12,0xaf]
// W64-ERR: :[[@LINE-2]]:25: error: invalid operand for instruction

v_div_scale_f64 v[5:6], vcc_lo, -exec, -src_scc, -exec
// W32: v_div_scale_f64 v[5:6], vcc_lo, -exec, -src_scc, -exec ; encoding: [0x05,0x6a,0xfd,0xd6,0x7e,0xfa,0xf9,0xe1]
// W64-ERR: :[[@LINE-2]]:25: error: invalid operand for instruction

v_div_scale_f64 v[5:6], vcc_lo, null, 0.5, vcc
// W32: v_div_scale_f64 v[5:6], vcc_lo, null, 0.5, vcc ; encoding: [0x05,0x6a,0xfd,0xd6,0x7c,0xe0,0xa9,0x01]
// W64-ERR: :[[@LINE-2]]:25: error: invalid operand for instruction

v_div_scale_f64 v[5:6], vcc_lo, -1, -1, 0xaf123456
// W32: v_div_scale_f64 v[5:6], vcc_lo, -1, -1, 0xaf123456 ; encoding: [0x05,0x6a,0xfd,0xd6,0xc1,0x82,0xfd,0x03,0x56,0x34,0x12,0xaf]
// W64-ERR: :[[@LINE-2]]:25: error: invalid operand for instruction

v_div_scale_f64 v[5:6], vcc_lo, 0.5, null, -src_scc mul:2
// W32: v_div_scale_f64 v[5:6], vcc_lo, 0.5, null, -src_scc mul:2 ; encoding: [0x05,0x6a,0xfd,0xd6,0xf0,0xf8,0xf4,0x8b]
// W64-ERR: :[[@LINE-2]]:25: error: invalid operand for instruction

v_div_scale_f64 v[5:6], vcc_lo, -src_scc, -exec, 0.5 mul:4
// W32: v_div_scale_f64 v[5:6], vcc_lo, -src_scc, -exec, 0.5 mul:4 ; encoding: [0x05,0x6a,0xfd,0xd6,0xfd,0xfc,0xc0,0x73]
// W64-ERR: :[[@LINE-2]]:25: error: invalid operand for instruction

v_div_scale_f64 v[254:255], vcc_lo, 0xaf123456, -vcc, -1 clamp div:2
// W32: v_div_scale_f64 v[254:255], vcc_lo, 0xaf123456, -vcc, -1 clamp div:2 ; encoding: [0xfe,0xea,0xfd,0xd6,0xff,0xd4,0x04,0x5b,0x56,0x34,0x12,0xaf]
// W64-ERR: :[[@LINE-2]]:29: error: invalid operand for instruction

v_div_scale_f64 v[5:6], vcc, v[1:2], v[2:3], v[3:4]
// W32-ERR: :[[@LINE-1]]:25: error: invalid operand for instruction
// W64: v_div_scale_f64 v[5:6], vcc, v[1:2], v[2:3], v[3:4] ; encoding: [0x05,0x6a,0xfd,0xd6,0x01,0x05,0x0e,0x04]

v_div_scale_f64 v[5:6], vcc, v[254:255], v[254:255], s[6:7]
// W32-ERR: :[[@LINE-1]]:25: error: invalid operand for instruction
// W64: v_div_scale_f64 v[5:6], vcc, v[254:255], v[254:255], s[6:7] ; encoding: [0x05,0x6a,0xfd,0xd6,0xfe,0xfd,0x1b,0x00]
	;; [unrolled: 4-line block ×3, first 2 shown]

v_div_scale_f64 v[5:6], vcc, -s[104:105], s[104:105], -s[104:105]
// W32-ERR: :[[@LINE-1]]:25: error: invalid operand for instruction
// W64: v_div_scale_f64 v[5:6], vcc, -s[104:105], s[104:105], -s[104:105] ; encoding: [0x05,0x6a,0xfd,0xd6,0x68,0xd0,0xa0,0xa1]

v_div_scale_f64 v[5:6], vcc, vcc, -ttmp[14:15], -ttmp[14:15]
// W32-ERR: :[[@LINE-1]]:25: error: invalid operand for instruction
// W64: v_div_scale_f64 v[5:6], vcc, vcc, -ttmp[14:15], -ttmp[14:15] ; encoding: [0x05,0x6a,0xfd,0xd6,0x6a,0xf4,0xe8,0xc1]

v_div_scale_f64 v[5:6], vcc, -ttmp[14:15], 0xaf123456, null
// W32-ERR: :[[@LINE-1]]:25: error: invalid operand for instruction
// W64: v_div_scale_f64 v[5:6], vcc, -ttmp[14:15], 0xaf123456, null ; encoding: [0x05,0x6a,0xfd,0xd6,0x7a,0xfe,0xf1,0x21,0x56,0x34,0x12,0xaf]

v_div_scale_f64 v[5:6], vcc, -exec, -src_scc, -exec
// W32-ERR: :[[@LINE-1]]:25: error: invalid operand for instruction
// W64: v_div_scale_f64 v[5:6], vcc, -exec, -src_scc, -exec ; encoding: [0x05,0x6a,0xfd,0xd6,0x7e,0xfa,0xf9,0xe1]

v_div_scale_f64 v[5:6], vcc, null, 0.5, vcc
// W32-ERR: :[[@LINE-1]]:25: error: invalid operand for instruction
// W64: v_div_scale_f64 v[5:6], vcc, null, 0.5, vcc ; encoding: [0x05,0x6a,0xfd,0xd6,0x7c,0xe0,0xa9,0x01]

v_div_scale_f64 v[5:6], vcc, -1, -1, 0xaf123456
// W32-ERR: :[[@LINE-1]]:25: error: invalid operand for instruction
// W64: v_div_scale_f64 v[5:6], vcc, -1, -1, 0xaf123456 ; encoding: [0x05,0x6a,0xfd,0xd6,0xc1,0x82,0xfd,0x03,0x56,0x34,0x12,0xaf]

v_div_scale_f64 v[5:6], vcc, 0.5, null, -src_scc mul:2
// W32-ERR: :[[@LINE-1]]:25: error: invalid operand for instruction
// W64: v_div_scale_f64 v[5:6], vcc, 0.5, null, -src_scc mul:2 ; encoding: [0x05,0x6a,0xfd,0xd6,0xf0,0xf8,0xf4,0x8b]

v_div_scale_f64 v[5:6], vcc, -src_scc, -exec, 0.5 mul:4
// W32-ERR: :[[@LINE-1]]:25: error: invalid operand for instruction
// W64: v_div_scale_f64 v[5:6], vcc, -src_scc, -exec, 0.5 mul:4 ; encoding: [0x05,0x6a,0xfd,0xd6,0xfd,0xfc,0xc0,0x73]

v_div_scale_f64 v[254:255], vcc, 0xaf123456, -vcc, -1 clamp div:2
// W32-ERR: :[[@LINE-1]]:29: error: invalid operand for instruction
// W64: v_div_scale_f64 v[254:255], vcc, 0xaf123456, -vcc, -1 clamp div:2 ; encoding: [0xfe,0xea,0xfd,0xd6,0xff,0xd4,0x04,0x5b,0x56,0x34,0x12,0xaf]

v_fma_dx9_zero_f32 v5, v1, v2, s3
// GFX13: v_fma_dx9_zero_f32 v5, v1, v2, s3       ; encoding: [0x05,0x00,0x09,0xd6,0x01,0x05,0x0e,0x00]

v_fma_dx9_zero_f32 v5, v255, s2, s105
// GFX13: v_fma_dx9_zero_f32 v5, v255, s2, s105   ; encoding: [0x05,0x00,0x09,0xd6,0xff,0x05,0xa4,0x01]

v_fma_dx9_zero_f32 v5, s1, v255, exec_hi
// GFX13: v_fma_dx9_zero_f32 v5, s1, v255, exec_hi ; encoding: [0x05,0x00,0x09,0xd6,0x01,0xfe,0xff,0x01]

v_fma_dx9_zero_f32 v5, s105, s105, exec_lo
// GFX13: v_fma_dx9_zero_f32 v5, s105, s105, exec_lo ; encoding: [0x05,0x00,0x09,0xd6,0x69,0xd2,0xf8,0x01]

v_fma_dx9_zero_f32 v5, vcc_lo, ttmp15, v3
// GFX13: v_fma_dx9_zero_f32 v5, vcc_lo, ttmp15, v3 ; encoding: [0x05,0x00,0x09,0xd6,0x6a,0xf6,0x0c,0x04]

v_fma_dx9_zero_f32 v5, vcc_hi, 0xaf123456, v255
// GFX13: v_fma_dx9_zero_f32 v5, vcc_hi, 0xaf123456, v255 ; encoding: [0x05,0x00,0x09,0xd6,0x6b,0xfe,0xfd,0x07,0x56,0x34,0x12,0xaf]

v_fma_dx9_zero_f32 v5, -|ttmp15|, -|src_scc|, -|ttmp15|
// GFX13: v_fma_dx9_zero_f32 v5, -|ttmp15|, -|src_scc|, -|ttmp15| ; encoding: [0x05,0x07,0x09,0xd6,0x7b,0xfa,0xed,0xe1]

v_fma_dx9_zero_f32 v5, m0, 0.5, m0
// GFX13: v_fma_dx9_zero_f32 v5, m0, 0.5, m0      ; encoding: [0x05,0x00,0x09,0xd6,0x7d,0xe0,0xf5,0x01]

v_fma_dx9_zero_f32 v5, |exec_lo|, -1, vcc_hi
// GFX13: v_fma_dx9_zero_f32 v5, |exec_lo|, -1, vcc_hi ; encoding: [0x05,0x01,0x09,0xd6,0x7e,0x82,0xad,0x01]

v_fma_dx9_zero_f32 v5, -|exec_hi|, null, -|vcc_lo|
// GFX13: v_fma_dx9_zero_f32 v5, -|exec_hi|, null, -|vcc_lo| ; encoding: [0x05,0x05,0x09,0xd6,0x7f,0xf8,0xa8,0xa1]

v_fma_dx9_zero_f32 v5, null, exec_lo, -|0xaf123456|
// GFX13: v_fma_dx9_zero_f32 v5, null, exec_lo, -|0xaf123456| ; encoding: [0x05,0x04,0x09,0xd6,0x7c,0xfc,0xfc,0x83,0x56,0x34,0x12,0xaf]

v_fma_dx9_zero_f32 v5, -1, -|exec_hi|, -|src_scc|
// GFX13: v_fma_dx9_zero_f32 v5, -1, -|exec_hi|, -|src_scc| ; encoding: [0x05,0x06,0x09,0xd6,0xc1,0xfe,0xf4,0xc3]

v_fma_dx9_zero_f32 v5, 0.5, -m0, 0.5 mul:2
// GFX13: v_fma_dx9_zero_f32 v5, 0.5, -m0, 0.5 mul:2 ; encoding: [0x05,0x00,0x09,0xd6,0xf0,0xfa,0xc0,0x4b]

v_fma_dx9_zero_f32 v5, -src_scc, |vcc_lo|, -1 mul:4
// GFX13: v_fma_dx9_zero_f32 v5, -src_scc, |vcc_lo|, -1 mul:4 ; encoding: [0x05,0x02,0x09,0xd6,0xfd,0xd4,0x04,0x33]

v_fma_dx9_zero_f32 v255, -|0xaf123456|, -|vcc_hi|, null clamp div:2
// GFX13: v_fma_dx9_zero_f32 v255, -|0xaf123456|, -|vcc_hi|, null clamp div:2 ; encoding: [0xff,0x83,0x09,0xd6,0xff,0xd6,0xf0,0x79,0x56,0x34,0x12,0xaf]

v_fma_f16 v5, v1, v2, s3
// GFX13: v_fma_f16 v5, v1, v2, s3                ; encoding: [0x05,0x00,0x4b,0xd7,0x01,0x05,0x0e,0x00]

v_fma_f16 v5, v255, s2, s105
// GFX13: v_fma_f16 v5, v255, s2, s105            ; encoding: [0x05,0x00,0x4b,0xd7,0xff,0x05,0xa4,0x01]

v_fma_f16 v5, s1, v255, exec_hi
// GFX13: v_fma_f16 v5, s1, v255, exec_hi         ; encoding: [0x05,0x00,0x4b,0xd7,0x01,0xfe,0xff,0x01]

v_fma_f16 v5, s105, s105, exec_lo
// GFX13: v_fma_f16 v5, s105, s105, exec_lo       ; encoding: [0x05,0x00,0x4b,0xd7,0x69,0xd2,0xf8,0x01]

v_fma_f16 v5, vcc_lo, ttmp15, v3
// GFX13: v_fma_f16 v5, vcc_lo, ttmp15, v3        ; encoding: [0x05,0x00,0x4b,0xd7,0x6a,0xf6,0x0c,0x04]

v_fma_f16 v5, vcc_hi, 0xfe0b, v255
// GFX13: v_fma_f16 v5, vcc_hi, 0xfe0b, v255      ; encoding: [0x05,0x00,0x4b,0xd7,0x6b,0xfe,0xfd,0x07,0x0b,0xfe,0x00,0x00]

v_fma_f16 v5, -|ttmp15|, -|src_scc|, -|ttmp15|
// GFX13: v_fma_f16 v5, -|ttmp15|, -|src_scc|, -|ttmp15| ; encoding: [0x05,0x07,0x4b,0xd7,0x7b,0xfa,0xed,0xe1]

v_fma_f16 v5, m0, 0.5, m0
// GFX13: v_fma_f16 v5, m0, 0.5, m0               ; encoding: [0x05,0x00,0x4b,0xd7,0x7d,0xe0,0xf5,0x01]

v_fma_f16 v5, |exec_lo|, -1, vcc_hi
// GFX13: v_fma_f16 v5, |exec_lo|, -1, vcc_hi     ; encoding: [0x05,0x01,0x4b,0xd7,0x7e,0x82,0xad,0x01]

v_fma_f16 v5, -|exec_hi|, null, -|vcc_lo| op_sel:[1,1,1,1]
// GFX13: v_fma_f16 v5, -|exec_hi|, null, -|vcc_lo| op_sel:[1,1,1,1] ; encoding: [0x05,0x7d,0x4b,0xd7,0x7f,0xf8,0xa8,0xa1]

v_fma_f16 v5, null, exec_lo, -|0xfe0b| op_sel:[0,0,0,0]
// GFX13: v_fma_f16 v5, null, exec_lo, -|0xfe0b|  ; encoding: [0x05,0x04,0x4b,0xd7,0x7c,0xfc,0xfc,0x83,0x0b,0xfe,0x00,0x00]

v_fma_f16 v5, -1, -|exec_hi|, -|src_scc| op_sel:[1,0,0,0]
// GFX13: v_fma_f16 v5, -1, -|exec_hi|, -|src_scc| op_sel:[1,0,0,0] ; encoding: [0x05,0x0e,0x4b,0xd7,0xc1,0xfe,0xf4,0xc3]

v_fma_f16 v5, 0.5, -m0, 0.5 op_sel:[0,1,0,0]
// GFX13: v_fma_f16 v5, 0.5, -m0, 0.5 op_sel:[0,1,0,0] ; encoding: [0x05,0x10,0x4b,0xd7,0xf0,0xfa,0xc0,0x43]

v_fma_f16 v5, -src_scc, |vcc_lo|, -1 op_sel:[0,0,1,0]
// GFX13: v_fma_f16 v5, -src_scc, |vcc_lo|, -1 op_sel:[0,0,1,0] ; encoding: [0x05,0x22,0x4b,0xd7,0xfd,0xd4,0x04,0x23]

v_fma_f16 v255, -|0xfe0b|, -|vcc_hi|, null op_sel:[0,0,0,1] clamp
// GFX13: v_fma_f16 v255, -|0xfe0b|, -|vcc_hi|, null op_sel:[0,0,0,1] clamp ; encoding: [0xff,0xc3,0x4b,0xd7,0xff,0xd6,0xf0,0x61,0x0b,0xfe,0x00,0x00]

v_fma_f32 v5, v1, v2, s3
// GFX13: v_fma_f32 v5, v1, v2, s3                ; encoding: [0x05,0x00,0x13,0xd6,0x01,0x05,0x0e,0x00]

v_fma_f32 v5, v255, s2, s105
// GFX13: v_fma_f32 v5, v255, s2, s105            ; encoding: [0x05,0x00,0x13,0xd6,0xff,0x05,0xa4,0x01]

v_fma_f32 v5, s1, v255, exec_hi
// GFX13: v_fma_f32 v5, s1, v255, exec_hi         ; encoding: [0x05,0x00,0x13,0xd6,0x01,0xfe,0xff,0x01]

v_fma_f32 v5, s105, s105, exec_lo
// GFX13: v_fma_f32 v5, s105, s105, exec_lo       ; encoding: [0x05,0x00,0x13,0xd6,0x69,0xd2,0xf8,0x01]

v_fma_f32 v5, vcc_lo, ttmp15, v3
// GFX13: v_fma_f32 v5, vcc_lo, ttmp15, v3        ; encoding: [0x05,0x00,0x13,0xd6,0x6a,0xf6,0x0c,0x04]

v_fma_f32 v5, vcc_hi, 0xaf123456, v255
// GFX13: v_fma_f32 v5, vcc_hi, 0xaf123456, v255  ; encoding: [0x05,0x00,0x13,0xd6,0x6b,0xfe,0xfd,0x07,0x56,0x34,0x12,0xaf]

v_fma_f32 v5, -|ttmp15|, -|src_scc|, -|ttmp15|
// GFX13: v_fma_f32 v5, -|ttmp15|, -|src_scc|, -|ttmp15| ; encoding: [0x05,0x07,0x13,0xd6,0x7b,0xfa,0xed,0xe1]

v_fma_f32 v5, m0, 0.5, m0
// GFX13: v_fma_f32 v5, m0, 0.5, m0               ; encoding: [0x05,0x00,0x13,0xd6,0x7d,0xe0,0xf5,0x01]

v_fma_f32 v5, |exec_lo|, -1, vcc_hi
// GFX13: v_fma_f32 v5, |exec_lo|, -1, vcc_hi     ; encoding: [0x05,0x01,0x13,0xd6,0x7e,0x82,0xad,0x01]

v_fma_f32 v5, -|exec_hi|, null, -|vcc_lo|
// GFX13: v_fma_f32 v5, -|exec_hi|, null, -|vcc_lo| ; encoding: [0x05,0x05,0x13,0xd6,0x7f,0xf8,0xa8,0xa1]

v_fma_f32 v5, null, exec_lo, -|0xaf123456|
// GFX13: v_fma_f32 v5, null, exec_lo, -|0xaf123456| ; encoding: [0x05,0x04,0x13,0xd6,0x7c,0xfc,0xfc,0x83,0x56,0x34,0x12,0xaf]

v_fma_f32 v5, -1, -|exec_hi|, -|src_scc|
// GFX13: v_fma_f32 v5, -1, -|exec_hi|, -|src_scc| ; encoding: [0x05,0x06,0x13,0xd6,0xc1,0xfe,0xf4,0xc3]

v_fma_f32 v5, 0.5, -m0, 0.5 mul:2
// GFX13: v_fma_f32 v5, 0.5, -m0, 0.5 mul:2       ; encoding: [0x05,0x00,0x13,0xd6,0xf0,0xfa,0xc0,0x4b]

v_fma_f32 v5, -src_scc, |vcc_lo|, -1 mul:4
// GFX13: v_fma_f32 v5, -src_scc, |vcc_lo|, -1 mul:4 ; encoding: [0x05,0x02,0x13,0xd6,0xfd,0xd4,0x04,0x33]

v_fma_f32 v255, -|0xaf123456|, -|vcc_hi|, null clamp div:2
// GFX13: v_fma_f32 v255, -|0xaf123456|, -|vcc_hi|, null clamp div:2 ; encoding: [0xff,0x83,0x13,0xd6,0xff,0xd6,0xf0,0x79,0x56,0x34,0x12,0xaf]

v_fma_f64 v[5:6], v[1:2], v[2:3], v[3:4]
// GFX13: v_fma_f64 v[5:6], v[1:2], v[2:3], v[3:4] ; encoding: [0x05,0x00,0x14,0xd6,0x01,0x05,0x0e,0x04]

v_fma_f64 v[5:6], v[254:255], v[254:255], s[6:7]
// GFX13: v_fma_f64 v[5:6], v[254:255], v[254:255], s[6:7] ; encoding: [0x05,0x00,0x14,0xd6,0xfe,0xfd,0x1b,0x00]
	;; [unrolled: 3-line block ×3, first 2 shown]

v_fma_f64 v[5:6], -|s[104:105]|, s[104:105], -|s[104:105]|
// GFX13: v_fma_f64 v[5:6], -|s[104:105]|, s[104:105], -|s[104:105]| ; encoding: [0x05,0x05,0x14,0xd6,0x68,0xd0,0xa0,0xa1]

v_fma_f64 v[5:6], vcc, -|ttmp[14:15]|, -|ttmp[14:15]|
// GFX13: v_fma_f64 v[5:6], vcc, -|ttmp[14:15]|, -|ttmp[14:15]| ; encoding: [0x05,0x06,0x14,0xd6,0x6a,0xf4,0xe8,0xc1]

v_fma_f64 v[5:6], -|ttmp[14:15]|, 0xaf123456, null
// GFX13: v_fma_f64 v[5:6], -|ttmp[14:15]|, 0xaf123456, null ; encoding: [0x05,0x01,0x14,0xd6,0x7a,0xfe,0xf1,0x21,0x56,0x34,0x12,0xaf]

v_fma_f64 v[5:6], -|exec|, -|src_scc|, -|exec|
// GFX13: v_fma_f64 v[5:6], -|exec|, -|src_scc|, -|exec| ; encoding: [0x05,0x07,0x14,0xd6,0x7e,0xfa,0xf9,0xe1]

v_fma_f64 v[5:6], null, 0.5, vcc
// GFX13: v_fma_f64 v[5:6], null, 0.5, vcc        ; encoding: [0x05,0x00,0x14,0xd6,0x7c,0xe0,0xa9,0x01]

v_fma_f64 v[5:6], -1, -1, 0xaf123456
// GFX13: v_fma_f64 v[5:6], -1, -1, 0xaf123456    ; encoding: [0x05,0x00,0x14,0xd6,0xc1,0x82,0xfd,0x03,0x56,0x34,0x12,0xaf]

v_fma_f64 v[5:6], 0.5, null, -|src_scc| mul:2
// GFX13: v_fma_f64 v[5:6], 0.5, null, -|src_scc| mul:2 ; encoding: [0x05,0x04,0x14,0xd6,0xf0,0xf8,0xf4,0x8b]

v_fma_f64 v[5:6], -|src_scc|, -|exec|, 0.5 mul:4
// GFX13: v_fma_f64 v[5:6], -|src_scc|, -|exec|, 0.5 mul:4 ; encoding: [0x05,0x03,0x14,0xd6,0xfd,0xfc,0xc0,0x73]

v_fma_f64 v[254:255], 0xaf123456, -|vcc|, -1 clamp div:2
// GFX13: v_fma_f64 v[254:255], 0xaf123456, -|vcc|, -1 clamp div:2 ; encoding: [0xfe,0x82,0x14,0xd6,0xff,0xd4,0x04,0x5b,0x56,0x34,0x12,0xaf]

v_fma_dx9_zero_f32 v5, v1, v2, s3
// GFX13: v_fma_dx9_zero_f32 v5, v1, v2, s3       ; encoding: [0x05,0x00,0x09,0xd6,0x01,0x05,0x0e,0x00]

v_fma_dx9_zero_f32 v5, v255, s2, s105
// GFX13: v_fma_dx9_zero_f32 v5, v255, s2, s105   ; encoding: [0x05,0x00,0x09,0xd6,0xff,0x05,0xa4,0x01]

v_fma_dx9_zero_f32 v5, s1, v255, exec_hi
// GFX13: v_fma_dx9_zero_f32 v5, s1, v255, exec_hi ; encoding: [0x05,0x00,0x09,0xd6,0x01,0xfe,0xff,0x01]

v_fma_dx9_zero_f32 v5, s105, s105, exec_lo
// GFX13: v_fma_dx9_zero_f32 v5, s105, s105, exec_lo ; encoding: [0x05,0x00,0x09,0xd6,0x69,0xd2,0xf8,0x01]

v_fma_dx9_zero_f32 v5, vcc_lo, ttmp15, v3
// GFX13: v_fma_dx9_zero_f32 v5, vcc_lo, ttmp15, v3 ; encoding: [0x05,0x00,0x09,0xd6,0x6a,0xf6,0x0c,0x04]

v_fma_dx9_zero_f32 v5, vcc_hi, 0xaf123456, v255
// GFX13: v_fma_dx9_zero_f32 v5, vcc_hi, 0xaf123456, v255 ; encoding: [0x05,0x00,0x09,0xd6,0x6b,0xfe,0xfd,0x07,0x56,0x34,0x12,0xaf]

v_fma_dx9_zero_f32 v5, -|ttmp15|, -|src_scc|, -|ttmp15|
// GFX13: v_fma_dx9_zero_f32 v5, -|ttmp15|, -|src_scc|, -|ttmp15| ; encoding: [0x05,0x07,0x09,0xd6,0x7b,0xfa,0xed,0xe1]

v_fma_dx9_zero_f32 v5, m0, 0.5, m0
// GFX13: v_fma_dx9_zero_f32 v5, m0, 0.5, m0      ; encoding: [0x05,0x00,0x09,0xd6,0x7d,0xe0,0xf5,0x01]

v_fma_dx9_zero_f32 v5, |exec_lo|, -1, vcc_hi
// GFX13: v_fma_dx9_zero_f32 v5, |exec_lo|, -1, vcc_hi ; encoding: [0x05,0x01,0x09,0xd6,0x7e,0x82,0xad,0x01]

v_fma_dx9_zero_f32 v5, -|exec_hi|, null, -|vcc_lo|
// GFX13: v_fma_dx9_zero_f32 v5, -|exec_hi|, null, -|vcc_lo| ; encoding: [0x05,0x05,0x09,0xd6,0x7f,0xf8,0xa8,0xa1]

v_fma_dx9_zero_f32 v5, null, exec_lo, -|0xaf123456|
// GFX13: v_fma_dx9_zero_f32 v5, null, exec_lo, -|0xaf123456| ; encoding: [0x05,0x04,0x09,0xd6,0x7c,0xfc,0xfc,0x83,0x56,0x34,0x12,0xaf]

v_fma_dx9_zero_f32 v5, -1, -|exec_hi|, -|src_scc|
// GFX13: v_fma_dx9_zero_f32 v5, -1, -|exec_hi|, -|src_scc| ; encoding: [0x05,0x06,0x09,0xd6,0xc1,0xfe,0xf4,0xc3]

v_fma_dx9_zero_f32 v5, 0.5, -m0, 0.5 mul:2
// GFX13: v_fma_dx9_zero_f32 v5, 0.5, -m0, 0.5 mul:2 ; encoding: [0x05,0x00,0x09,0xd6,0xf0,0xfa,0xc0,0x4b]

v_fma_dx9_zero_f32 v5, -src_scc, |vcc_lo|, -1 mul:4
// GFX13: v_fma_dx9_zero_f32 v5, -src_scc, |vcc_lo|, -1 mul:4 ; encoding: [0x05,0x02,0x09,0xd6,0xfd,0xd4,0x04,0x33]

v_fma_dx9_zero_f32 v255, -|0xaf123456|, -|vcc_hi|, null clamp div:2
// GFX13: v_fma_dx9_zero_f32 v255, -|0xaf123456|, -|vcc_hi|, null clamp div:2 ; encoding: [0xff,0x83,0x09,0xd6,0xff,0xd6,0xf0,0x79,0x56,0x34,0x12,0xaf]

v_ldexp_f32 v5, v1, v2
// GFX13: v_ldexp_f32 v5, v1, v2                  ; encoding: [0x05,0x00,0x62,0xd7,0x01,0x05,0x02,0x02]

v_ldexp_f32 v5, v255, v255
// GFX13: v_ldexp_f32 v5, v255, v255              ; encoding: [0x05,0x00,0x62,0xd7,0xff,0xff,0x03,0x02]

v_ldexp_f32 v5, s1, s2
// GFX13: v_ldexp_f32 v5, s1, s2                  ; encoding: [0x05,0x00,0x62,0xd7,0x01,0x04,0x00,0x02]

v_ldexp_f32 v5, s105, s105
// GFX13: v_ldexp_f32 v5, s105, s105              ; encoding: [0x05,0x00,0x62,0xd7,0x69,0xd2,0x00,0x02]

v_ldexp_f32 v5, vcc_lo, ttmp15
// GFX13: v_ldexp_f32 v5, vcc_lo, ttmp15          ; encoding: [0x05,0x00,0x62,0xd7,0x6a,0xf6,0x00,0x02]

v_ldexp_f32 v5, vcc_hi, 0xaf123456
// GFX13: v_ldexp_f32 v5, vcc_hi, 0xaf123456      ; encoding: [0x05,0x00,0x62,0xd7,0x6b,0xfe,0x01,0x02,0x56,0x34,0x12,0xaf]

v_ldexp_f32 v5, ttmp15, src_scc
// GFX13: v_ldexp_f32 v5, ttmp15, src_scc         ; encoding: [0x05,0x00,0x62,0xd7,0x7b,0xfa,0x01,0x02]

v_ldexp_f32 v5, m0, 0.5
// GFX13: v_ldexp_f32 v5, m0, 0.5                 ; encoding: [0x05,0x00,0x62,0xd7,0x7d,0xe0,0x01,0x02]

v_ldexp_f32 v5, exec_lo, -1
// GFX13: v_ldexp_f32 v5, exec_lo, -1             ; encoding: [0x05,0x00,0x62,0xd7,0x7e,0x82,0x01,0x02]

v_ldexp_f32 v5, exec_hi, null
// GFX13: v_ldexp_f32 v5, exec_hi, null           ; encoding: [0x05,0x00,0x62,0xd7,0x7f,0xf8,0x00,0x02]

v_ldexp_f32 v5, null, exec_lo
// GFX13: v_ldexp_f32 v5, null, exec_lo           ; encoding: [0x05,0x00,0x62,0xd7,0x7c,0xfc,0x00,0x02]

v_ldexp_f32 v5, -1, exec_hi
// GFX13: v_ldexp_f32 v5, -1, exec_hi             ; encoding: [0x05,0x00,0x62,0xd7,0xc1,0xfe,0x00,0x02]

v_ldexp_f32 v5, 0.5, m0 mul:2
// GFX13: v_ldexp_f32 v5, 0.5, m0 mul:2           ; encoding: [0x05,0x00,0x62,0xd7,0xf0,0xfa,0x00,0x0a]

v_ldexp_f32 v5, src_scc, vcc_lo mul:4
// GFX13: v_ldexp_f32 v5, src_scc, vcc_lo mul:4   ; encoding: [0x05,0x00,0x62,0xd7,0xfd,0xd4,0x00,0x12]

v_ldexp_f32 v255, -|0xaf123456|, vcc_hi clamp div:2
// GFX13: v_ldexp_f32 v255, -|0xaf123456|, vcc_hi clamp div:2 ; encoding: [0xff,0x81,0x62,0xd7,0xff,0xd6,0x00,0x3a,0x56,0x34,0x12,0xaf]

v_ldexp_f64 v[5:6], v[1:2], v2
// GFX13: v_ldexp_f64 v[5:6], v[1:2], v2          ; encoding: [0x05,0x00,0x2b,0xd7,0x01,0x05,0x02,0x02]

v_ldexp_f64 v[5:6], v[1:2], v255
// GFX13: v_ldexp_f64 v[5:6], v[1:2], v255        ; encoding: [0x05,0x00,0x2b,0xd7,0x01,0xff,0x03,0x02]

v_ldexp_f64 v[5:6], v[1:2], s2
// GFX13: v_ldexp_f64 v[5:6], v[1:2], s2          ; encoding: [0x05,0x00,0x2b,0xd7,0x01,0x05,0x00,0x02]

v_ldexp_f64 v[5:6], v[1:2], s105
// GFX13: v_ldexp_f64 v[5:6], v[1:2], s105        ; encoding: [0x05,0x00,0x2b,0xd7,0x01,0xd3,0x00,0x02]

v_ldexp_f64 v[5:6], v[254:255], ttmp15
// GFX13: v_ldexp_f64 v[5:6], v[254:255], ttmp15  ; encoding: [0x05,0x00,0x2b,0xd7,0xfe,0xf7,0x00,0x02]

v_ldexp_f64 v[5:6], s[2:3], vcc_hi
// GFX13: v_ldexp_f64 v[5:6], s[2:3], vcc_hi      ; encoding: [0x05,0x00,0x2b,0xd7,0x02,0xd6,0x00,0x02]

v_ldexp_f64 v[5:6], s[104:105], vcc_lo
// GFX13: v_ldexp_f64 v[5:6], s[104:105], vcc_lo  ; encoding: [0x05,0x00,0x2b,0xd7,0x68,0xd4,0x00,0x02]

v_ldexp_f64 v[5:6], vcc, m0
// GFX13: v_ldexp_f64 v[5:6], vcc, m0             ; encoding: [0x05,0x00,0x2b,0xd7,0x6a,0xfa,0x00,0x02]

v_ldexp_f64 v[5:6], ttmp[14:15], exec_hi
// GFX13: v_ldexp_f64 v[5:6], ttmp[14:15], exec_hi ; encoding: [0x05,0x00,0x2b,0xd7,0x7a,0xfe,0x00,0x02]

v_ldexp_f64 v[5:6], exec, exec_lo
// GFX13: v_ldexp_f64 v[5:6], exec, exec_lo       ; encoding: [0x05,0x00,0x2b,0xd7,0x7e,0xfc,0x00,0x02]

v_ldexp_f64 v[5:6], null, null
// GFX13: v_ldexp_f64 v[5:6], null, null          ; encoding: [0x05,0x00,0x2b,0xd7,0x7c,0xf8,0x00,0x02]

v_ldexp_f64 v[5:6], -1, -1
// GFX13: v_ldexp_f64 v[5:6], -1, -1              ; encoding: [0x05,0x00,0x2b,0xd7,0xc1,0x82,0x01,0x02]

v_ldexp_f64 v[5:6], 0.5, 0.5 mul:2
// GFX13: v_ldexp_f64 v[5:6], 0.5, 0.5 mul:2      ; encoding: [0x05,0x00,0x2b,0xd7,0xf0,0xe0,0x01,0x0a]

v_ldexp_f64 v[5:6], -|src_scc|, src_scc mul:4
// GFX13: v_ldexp_f64 v[5:6], -|src_scc|, src_scc mul:4 ; encoding: [0x05,0x01,0x2b,0xd7,0xfd,0xfa,0x01,0x32]

v_ldexp_f64 v[254:255], 0xaf123456, 0xaf123456 clamp div:2
// GFX13: v_ldexp_f64 v[254:255], 0xaf123456, 0xaf123456 clamp div:2 ; encoding: [0xfe,0x80,0x2b,0xd7,0xff,0xfe,0x01,0x1a,0x56,0x34,0x12,0xaf]

v_lerp_u8 v5, v1, v2, s3
// GFX13: v_lerp_u8 v5, v1, v2, s3                ; encoding: [0x05,0x00,0x15,0xd6,0x01,0x05,0x0e,0x00]

v_lerp_u8 v5, v255, s2, s105
// GFX13: v_lerp_u8 v5, v255, s2, s105            ; encoding: [0x05,0x00,0x15,0xd6,0xff,0x05,0xa4,0x01]

v_lerp_u8 v5, s1, v255, exec_hi
// GFX13: v_lerp_u8 v5, s1, v255, exec_hi         ; encoding: [0x05,0x00,0x15,0xd6,0x01,0xfe,0xff,0x01]

v_lerp_u8 v5, s105, s105, exec_lo
// GFX13: v_lerp_u8 v5, s105, s105, exec_lo       ; encoding: [0x05,0x00,0x15,0xd6,0x69,0xd2,0xf8,0x01]

v_lerp_u8 v5, vcc_lo, ttmp15, v3
// GFX13: v_lerp_u8 v5, vcc_lo, ttmp15, v3        ; encoding: [0x05,0x00,0x15,0xd6,0x6a,0xf6,0x0c,0x04]

v_lerp_u8 v5, vcc_hi, 0xaf123456, v255
// GFX13: v_lerp_u8 v5, vcc_hi, 0xaf123456, v255  ; encoding: [0x05,0x00,0x15,0xd6,0x6b,0xfe,0xfd,0x07,0x56,0x34,0x12,0xaf]

v_lerp_u8 v5, ttmp15, src_scc, ttmp15
// GFX13: v_lerp_u8 v5, ttmp15, src_scc, ttmp15   ; encoding: [0x05,0x00,0x15,0xd6,0x7b,0xfa,0xed,0x01]

v_lerp_u8 v5, m0, 0.5, m0
// GFX13: v_lerp_u8 v5, m0, 0.5, m0               ; encoding: [0x05,0x00,0x15,0xd6,0x7d,0xe0,0xf5,0x01]

v_lerp_u8 v5, exec_lo, -1, vcc_hi
// GFX13: v_lerp_u8 v5, exec_lo, -1, vcc_hi       ; encoding: [0x05,0x00,0x15,0xd6,0x7e,0x82,0xad,0x01]

v_lerp_u8 v5, exec_hi, null, vcc_lo
// GFX13: v_lerp_u8 v5, exec_hi, null, vcc_lo     ; encoding: [0x05,0x00,0x15,0xd6,0x7f,0xf8,0xa8,0x01]

v_lerp_u8 v5, null, exec_lo, 0xaf123456
// GFX13: v_lerp_u8 v5, null, exec_lo, 0xaf123456 ; encoding: [0x05,0x00,0x15,0xd6,0x7c,0xfc,0xfc,0x03,0x56,0x34,0x12,0xaf]

v_lerp_u8 v5, -1, exec_hi, src_scc
// GFX13: v_lerp_u8 v5, -1, exec_hi, src_scc      ; encoding: [0x05,0x00,0x15,0xd6,0xc1,0xfe,0xf4,0x03]

v_lerp_u8 v5, 0.5, m0, 0.5
// GFX13: v_lerp_u8 v5, 0.5, m0, 0.5              ; encoding: [0x05,0x00,0x15,0xd6,0xf0,0xfa,0xc0,0x03]

v_lerp_u8 v5, src_scc, vcc_lo, -1
// GFX13: v_lerp_u8 v5, src_scc, vcc_lo, -1       ; encoding: [0x05,0x00,0x15,0xd6,0xfd,0xd4,0x04,0x03]

v_lerp_u8 v255, 0xaf123456, vcc_hi, null
// GFX13: v_lerp_u8 v255, 0xaf123456, vcc_hi, null ; encoding: [0xff,0x00,0x15,0xd6,0xff,0xd6,0xf0,0x01,0x56,0x34,0x12,0xaf]

v_lshl_add_u32 v5, v1, v2, s3
// GFX13: v_lshl_add_u32 v5, v1, v2, s3           ; encoding: [0x05,0x00,0x46,0xd7,0x01,0x05,0x0e,0x00]

v_lshl_add_u32 v5, v255, s2, s105
// GFX13: v_lshl_add_u32 v5, v255, s2, s105       ; encoding: [0x05,0x00,0x46,0xd7,0xff,0x05,0xa4,0x01]

v_lshl_add_u32 v5, s1, v255, exec_hi
// GFX13: v_lshl_add_u32 v5, s1, v255, exec_hi    ; encoding: [0x05,0x00,0x46,0xd7,0x01,0xfe,0xff,0x01]

v_lshl_add_u32 v5, s105, s105, exec_lo
// GFX13: v_lshl_add_u32 v5, s105, s105, exec_lo  ; encoding: [0x05,0x00,0x46,0xd7,0x69,0xd2,0xf8,0x01]

v_lshl_add_u32 v5, vcc_lo, ttmp15, v3
// GFX13: v_lshl_add_u32 v5, vcc_lo, ttmp15, v3   ; encoding: [0x05,0x00,0x46,0xd7,0x6a,0xf6,0x0c,0x04]

v_lshl_add_u32 v5, vcc_hi, 0xaf123456, v255
// GFX13: v_lshl_add_u32 v5, vcc_hi, 0xaf123456, v255 ; encoding: [0x05,0x00,0x46,0xd7,0x6b,0xfe,0xfd,0x07,0x56,0x34,0x12,0xaf]

v_lshl_add_u32 v5, ttmp15, src_scc, ttmp15
// GFX13: v_lshl_add_u32 v5, ttmp15, src_scc, ttmp15 ; encoding: [0x05,0x00,0x46,0xd7,0x7b,0xfa,0xed,0x01]

v_lshl_add_u32 v5, m0, 0.5, m0
// GFX13: v_lshl_add_u32 v5, m0, 0.5, m0          ; encoding: [0x05,0x00,0x46,0xd7,0x7d,0xe0,0xf5,0x01]

v_lshl_add_u32 v5, exec_lo, -1, vcc_hi
// GFX13: v_lshl_add_u32 v5, exec_lo, -1, vcc_hi  ; encoding: [0x05,0x00,0x46,0xd7,0x7e,0x82,0xad,0x01]

v_lshl_add_u32 v5, exec_hi, null, vcc_lo
// GFX13: v_lshl_add_u32 v5, exec_hi, null, vcc_lo ; encoding: [0x05,0x00,0x46,0xd7,0x7f,0xf8,0xa8,0x01]

v_lshl_add_u32 v5, null, exec_lo, 0xaf123456
// GFX13: v_lshl_add_u32 v5, null, exec_lo, 0xaf123456 ; encoding: [0x05,0x00,0x46,0xd7,0x7c,0xfc,0xfc,0x03,0x56,0x34,0x12,0xaf]

v_lshl_add_u32 v5, -1, exec_hi, src_scc
// GFX13: v_lshl_add_u32 v5, -1, exec_hi, src_scc ; encoding: [0x05,0x00,0x46,0xd7,0xc1,0xfe,0xf4,0x03]

v_lshl_add_u32 v5, 0.5, m0, 0.5
// GFX13: v_lshl_add_u32 v5, 0.5, m0, 0.5         ; encoding: [0x05,0x00,0x46,0xd7,0xf0,0xfa,0xc0,0x03]

v_lshl_add_u32 v5, src_scc, vcc_lo, -1
// GFX13: v_lshl_add_u32 v5, src_scc, vcc_lo, -1  ; encoding: [0x05,0x00,0x46,0xd7,0xfd,0xd4,0x04,0x03]

v_lshl_add_u32 v255, 0xaf123456, vcc_hi, null
// GFX13: v_lshl_add_u32 v255, 0xaf123456, vcc_hi, null ; encoding: [0xff,0x00,0x46,0xd7,0xff,0xd6,0xf0,0x01,0x56,0x34,0x12,0xaf]

v_lshl_or_b32 v5, v1, v2, s3
// GFX13: v_lshl_or_b32 v5, v1, v2, s3            ; encoding: [0x05,0x00,0x6f,0xd7,0x01,0x05,0x0e,0x00]

v_lshl_or_b32 v5, v255, s2, s105
// GFX13: v_lshl_or_b32 v5, v255, s2, s105        ; encoding: [0x05,0x00,0x6f,0xd7,0xff,0x05,0xa4,0x01]

v_lshl_or_b32 v5, s1, v255, exec_hi
// GFX13: v_lshl_or_b32 v5, s1, v255, exec_hi     ; encoding: [0x05,0x00,0x6f,0xd7,0x01,0xfe,0xff,0x01]

v_lshl_or_b32 v5, s105, s105, exec_lo
// GFX13: v_lshl_or_b32 v5, s105, s105, exec_lo   ; encoding: [0x05,0x00,0x6f,0xd7,0x69,0xd2,0xf8,0x01]

v_lshl_or_b32 v5, vcc_lo, ttmp15, v3
// GFX13: v_lshl_or_b32 v5, vcc_lo, ttmp15, v3    ; encoding: [0x05,0x00,0x6f,0xd7,0x6a,0xf6,0x0c,0x04]

v_lshl_or_b32 v5, vcc_hi, 0xaf123456, v255
// GFX13: v_lshl_or_b32 v5, vcc_hi, 0xaf123456, v255 ; encoding: [0x05,0x00,0x6f,0xd7,0x6b,0xfe,0xfd,0x07,0x56,0x34,0x12,0xaf]

v_lshl_or_b32 v5, ttmp15, src_scc, ttmp15
// GFX13: v_lshl_or_b32 v5, ttmp15, src_scc, ttmp15 ; encoding: [0x05,0x00,0x6f,0xd7,0x7b,0xfa,0xed,0x01]

v_lshl_or_b32 v5, m0, 0.5, m0
// GFX13: v_lshl_or_b32 v5, m0, 0.5, m0           ; encoding: [0x05,0x00,0x6f,0xd7,0x7d,0xe0,0xf5,0x01]

v_lshl_or_b32 v5, exec_lo, -1, vcc_hi
// GFX13: v_lshl_or_b32 v5, exec_lo, -1, vcc_hi   ; encoding: [0x05,0x00,0x6f,0xd7,0x7e,0x82,0xad,0x01]

v_lshl_or_b32 v5, exec_hi, null, vcc_lo
// GFX13: v_lshl_or_b32 v5, exec_hi, null, vcc_lo ; encoding: [0x05,0x00,0x6f,0xd7,0x7f,0xf8,0xa8,0x01]

v_lshl_or_b32 v5, null, exec_lo, 0xaf123456
// GFX13: v_lshl_or_b32 v5, null, exec_lo, 0xaf123456 ; encoding: [0x05,0x00,0x6f,0xd7,0x7c,0xfc,0xfc,0x03,0x56,0x34,0x12,0xaf]

v_lshl_or_b32 v5, -1, exec_hi, src_scc
// GFX13: v_lshl_or_b32 v5, -1, exec_hi, src_scc  ; encoding: [0x05,0x00,0x6f,0xd7,0xc1,0xfe,0xf4,0x03]

v_lshl_or_b32 v5, 0.5, m0, 0.5
// GFX13: v_lshl_or_b32 v5, 0.5, m0, 0.5          ; encoding: [0x05,0x00,0x6f,0xd7,0xf0,0xfa,0xc0,0x03]

v_lshl_or_b32 v5, src_scc, vcc_lo, -1
// GFX13: v_lshl_or_b32 v5, src_scc, vcc_lo, -1   ; encoding: [0x05,0x00,0x6f,0xd7,0xfd,0xd4,0x04,0x03]

v_lshl_or_b32 v255, 0xaf123456, vcc_hi, null
// GFX13: v_lshl_or_b32 v255, 0xaf123456, vcc_hi, null ; encoding: [0xff,0x00,0x6f,0xd7,0xff,0xd6,0xf0,0x01,0x56,0x34,0x12,0xaf]

v_lshlrev_b16 v5, v1, v2
// GFX13: v_lshlrev_b16 v5, v1, v2                ; encoding: [0x05,0x00,0x14,0xd7,0x01,0x05,0x02,0x02]

v_lshlrev_b16 v5, v255, v255
// GFX13: v_lshlrev_b16 v5, v255, v255            ; encoding: [0x05,0x00,0x14,0xd7,0xff,0xff,0x03,0x02]

v_lshlrev_b16 v5, s1, s2
// GFX13: v_lshlrev_b16 v5, s1, s2                ; encoding: [0x05,0x00,0x14,0xd7,0x01,0x04,0x00,0x02]

v_lshlrev_b16 v5, s105, s105
// GFX13: v_lshlrev_b16 v5, s105, s105            ; encoding: [0x05,0x00,0x14,0xd7,0x69,0xd2,0x00,0x02]

v_lshlrev_b16 v5, vcc_lo, ttmp15
// GFX13: v_lshlrev_b16 v5, vcc_lo, ttmp15        ; encoding: [0x05,0x00,0x14,0xd7,0x6a,0xf6,0x00,0x02]

v_lshlrev_b16 v5, vcc_hi, 0xfe0b
// GFX13: v_lshlrev_b16 v5, vcc_hi, 0xfe0b        ; encoding: [0x05,0x00,0x14,0xd7,0x6b,0xfe,0x01,0x02,0x0b,0xfe,0x00,0x00]

v_lshlrev_b16 v5, ttmp15, src_scc
// GFX13: v_lshlrev_b16 v5, ttmp15, src_scc       ; encoding: [0x05,0x00,0x14,0xd7,0x7b,0xfa,0x01,0x02]

v_lshlrev_b16 v5, m0, 0.5
// GFX13: v_lshlrev_b16 v5, m0, 0.5               ; encoding: [0x05,0x00,0x14,0xd7,0x7d,0xe0,0x01,0x02]

v_lshlrev_b16 v5, exec_lo, -1
// GFX13: v_lshlrev_b16 v5, exec_lo, -1           ; encoding: [0x05,0x00,0x14,0xd7,0x7e,0x82,0x01,0x02]

v_lshlrev_b16 v5, exec_hi, null
// GFX13: v_lshlrev_b16 v5, exec_hi, null         ; encoding: [0x05,0x00,0x14,0xd7,0x7f,0xf8,0x00,0x02]

v_lshlrev_b16 v5, null, exec_lo
// GFX13: v_lshlrev_b16 v5, null, exec_lo         ; encoding: [0x05,0x00,0x14,0xd7,0x7c,0xfc,0x00,0x02]

v_lshlrev_b16 v5, -1, exec_hi
// GFX13: v_lshlrev_b16 v5, -1, exec_hi           ; encoding: [0x05,0x00,0x14,0xd7,0xc1,0xfe,0x00,0x02]

v_lshlrev_b16 v5, 0.5, m0
// GFX13: v_lshlrev_b16 v5, 0.5, m0               ; encoding: [0x05,0x00,0x14,0xd7,0xf0,0xfa,0x00,0x02]

v_lshlrev_b16 v5, src_scc, vcc_lo
// GFX13: v_lshlrev_b16 v5, src_scc, vcc_lo       ; encoding: [0x05,0x00,0x14,0xd7,0xfd,0xd4,0x00,0x02]

v_lshlrev_b16 v255, 0xfe0b, vcc_hi
// GFX13: v_lshlrev_b16 v255, 0xfe0b, vcc_hi      ; encoding: [0xff,0x00,0x14,0xd7,0xff,0xd6,0x00,0x02,0x0b,0xfe,0x00,0x00]

v_lshrrev_b16 v5, v1, v2
// GFX13: v_lshrrev_b16 v5, v1, v2                ; encoding: [0x05,0x00,0x39,0xd7,0x01,0x05,0x02,0x02]

v_lshrrev_b16 v5, v255, v255
// GFX13: v_lshrrev_b16 v5, v255, v255            ; encoding: [0x05,0x00,0x39,0xd7,0xff,0xff,0x03,0x02]

v_lshrrev_b16 v5, s1, s2
// GFX13: v_lshrrev_b16 v5, s1, s2                ; encoding: [0x05,0x00,0x39,0xd7,0x01,0x04,0x00,0x02]

v_lshrrev_b16 v5, s105, s105
// GFX13: v_lshrrev_b16 v5, s105, s105            ; encoding: [0x05,0x00,0x39,0xd7,0x69,0xd2,0x00,0x02]

v_lshrrev_b16 v5, vcc_lo, ttmp15
// GFX13: v_lshrrev_b16 v5, vcc_lo, ttmp15        ; encoding: [0x05,0x00,0x39,0xd7,0x6a,0xf6,0x00,0x02]

v_lshrrev_b16 v5, vcc_hi, 0xfe0b
// GFX13: v_lshrrev_b16 v5, vcc_hi, 0xfe0b        ; encoding: [0x05,0x00,0x39,0xd7,0x6b,0xfe,0x01,0x02,0x0b,0xfe,0x00,0x00]

v_lshrrev_b16 v5, ttmp15, src_scc
// GFX13: v_lshrrev_b16 v5, ttmp15, src_scc       ; encoding: [0x05,0x00,0x39,0xd7,0x7b,0xfa,0x01,0x02]

v_lshrrev_b16 v5, m0, 0.5
// GFX13: v_lshrrev_b16 v5, m0, 0.5               ; encoding: [0x05,0x00,0x39,0xd7,0x7d,0xe0,0x01,0x02]

v_lshrrev_b16 v5, exec_lo, -1
// GFX13: v_lshrrev_b16 v5, exec_lo, -1           ; encoding: [0x05,0x00,0x39,0xd7,0x7e,0x82,0x01,0x02]

v_lshrrev_b16 v5, exec_hi, null
// GFX13: v_lshrrev_b16 v5, exec_hi, null         ; encoding: [0x05,0x00,0x39,0xd7,0x7f,0xf8,0x00,0x02]

v_lshrrev_b16 v5, null, exec_lo
// GFX13: v_lshrrev_b16 v5, null, exec_lo         ; encoding: [0x05,0x00,0x39,0xd7,0x7c,0xfc,0x00,0x02]

v_lshrrev_b16 v5, -1, exec_hi
// GFX13: v_lshrrev_b16 v5, -1, exec_hi           ; encoding: [0x05,0x00,0x39,0xd7,0xc1,0xfe,0x00,0x02]

v_lshrrev_b16 v5, 0.5, m0
// GFX13: v_lshrrev_b16 v5, 0.5, m0               ; encoding: [0x05,0x00,0x39,0xd7,0xf0,0xfa,0x00,0x02]

v_lshrrev_b16 v5, src_scc, vcc_lo
// GFX13: v_lshrrev_b16 v5, src_scc, vcc_lo       ; encoding: [0x05,0x00,0x39,0xd7,0xfd,0xd4,0x00,0x02]

v_lshrrev_b16 v255, 0xfe0b, vcc_hi
// GFX13: v_lshrrev_b16 v255, 0xfe0b, vcc_hi      ; encoding: [0xff,0x00,0x39,0xd7,0xff,0xd6,0x00,0x02,0x0b,0xfe,0x00,0x00]

v_lshrrev_b64 v[5:6], v1, vcc
// GFX13: v_lshrrev_b64 v[5:6], v1, vcc           ; encoding: [0x05,0x00,0x00,0xd7,0x01,0xd5,0x00,0x02]

v_lshrrev_b64 v[5:6], v255, exec
// GFX13: v_lshrrev_b64 v[5:6], v255, exec        ; encoding: [0x05,0x00,0x00,0xd7,0xff,0xfd,0x00,0x02]

v_lshrrev_b64 v[5:6], exec_lo, v[2:3]
// GFX13: v_lshrrev_b64 v[5:6], exec_lo, v[2:3]   ; encoding: [0x05,0x00,0x00,0xd7,0x7e,0x04,0x02,0x02]

v_lshrrev_b64 v[5:6], exec_hi, v[254:255]
// GFX13: v_lshrrev_b64 v[5:6], exec_hi, v[254:255] ; encoding: [0x05,0x00,0x00,0xd7,0x7f,0xfc,0x03,0x02]

v_lshrrev_b64 v[5:6], null, null
// GFX13: v_lshrrev_b64 v[5:6], null, null        ; encoding: [0x05,0x00,0x00,0xd7,0x7c,0xf8,0x00,0x02]

v_lshrrev_b64 v[5:6], -1, -1
// GFX13: v_lshrrev_b64 v[5:6], -1, -1            ; encoding: [0x05,0x00,0x00,0xd7,0xc1,0x82,0x01,0x02]

v_lshrrev_b64 v[5:6], 0.5, 0xaf123456
// GFX13: v_lshrrev_b64 v[5:6], 0.5, 0xaf123456   ; encoding: [0x05,0x00,0x00,0xd7,0xf0,0xfe,0x01,0x02,0x56,0x34,0x12,0xaf]

v_lshrrev_b64 v[5:6], src_scc, src_scc
// GFX13: v_lshrrev_b64 v[5:6], src_scc, src_scc  ; encoding: [0x05,0x00,0x00,0xd7,0xfd,0xfa,0x01,0x02]

v_lshrrev_b64 v[254:255], 0xaf123456, 0.5
// GFX13: v_lshrrev_b64 v[254:255], 0xaf123456, 0.5 ; encoding: [0xfe,0x00,0x00,0xd7,0xff,0xe0,0x01,0x02,0x56,0x34,0x12,0xaf]

v_mad_i16 v5, v1, v2, s3
// GFX13: v_mad_i16 v5, v1, v2, s3                ; encoding: [0x05,0x00,0x5e,0xd7,0x01,0x05,0x0e,0x00]

v_mad_i16 v5, v255, s2, s105
// GFX13: v_mad_i16 v5, v255, s2, s105            ; encoding: [0x05,0x00,0x5e,0xd7,0xff,0x05,0xa4,0x01]

v_mad_i16 v5, s1, v255, exec_hi
// GFX13: v_mad_i16 v5, s1, v255, exec_hi         ; encoding: [0x05,0x00,0x5e,0xd7,0x01,0xfe,0xff,0x01]

v_mad_i16 v5, s105, s105, exec_lo
// GFX13: v_mad_i16 v5, s105, s105, exec_lo       ; encoding: [0x05,0x00,0x5e,0xd7,0x69,0xd2,0xf8,0x01]

v_mad_i16 v5, vcc_lo, ttmp15, v3
// GFX13: v_mad_i16 v5, vcc_lo, ttmp15, v3        ; encoding: [0x05,0x00,0x5e,0xd7,0x6a,0xf6,0x0c,0x04]

v_mad_i16 v5, vcc_hi, 0xfe0b, v255
// GFX13: v_mad_i16 v5, vcc_hi, 0xfe0b, v255      ; encoding: [0x05,0x00,0x5e,0xd7,0x6b,0xfe,0xfd,0x07,0x0b,0xfe,0x00,0x00]

v_mad_i16 v5, ttmp15, src_scc, ttmp15
// GFX13: v_mad_i16 v5, ttmp15, src_scc, ttmp15   ; encoding: [0x05,0x00,0x5e,0xd7,0x7b,0xfa,0xed,0x01]

v_mad_i16 v5, m0, 0.5, m0
// GFX13: v_mad_i16 v5, m0, 0.5, m0               ; encoding: [0x05,0x00,0x5e,0xd7,0x7d,0xe0,0xf5,0x01]

v_mad_i16 v5, exec_lo, -1, vcc_hi
// GFX13: v_mad_i16 v5, exec_lo, -1, vcc_hi       ; encoding: [0x05,0x00,0x5e,0xd7,0x7e,0x82,0xad,0x01]

v_mad_i16 v5, exec_hi, null, vcc_lo op_sel:[1,1,1,1]
// GFX13: v_mad_i16 v5, exec_hi, null, vcc_lo op_sel:[1,1,1,1] ; encoding: [0x05,0x78,0x5e,0xd7,0x7f,0xf8,0xa8,0x01]

v_mad_i16 v5, null, exec_lo, 0xfe0b op_sel:[0,0,0,0]
// GFX13: v_mad_i16 v5, null, exec_lo, 0xfe0b     ; encoding: [0x05,0x00,0x5e,0xd7,0x7c,0xfc,0xfc,0x03,0x0b,0xfe,0x00,0x00]

v_mad_i16 v5, -1, exec_hi, src_scc op_sel:[1,0,0,0]
// GFX13: v_mad_i16 v5, -1, exec_hi, src_scc op_sel:[1,0,0,0] ; encoding: [0x05,0x08,0x5e,0xd7,0xc1,0xfe,0xf4,0x03]

v_mad_i16 v5, 0.5, m0, 0.5 op_sel:[0,1,0,0]
// GFX13: v_mad_i16 v5, 0.5, m0, 0.5 op_sel:[0,1,0,0] ; encoding: [0x05,0x10,0x5e,0xd7,0xf0,0xfa,0xc0,0x03]

v_mad_i16 v5, src_scc, vcc_lo, -1 op_sel:[0,0,1,0]
// GFX13: v_mad_i16 v5, src_scc, vcc_lo, -1 op_sel:[0,0,1,0] ; encoding: [0x05,0x20,0x5e,0xd7,0xfd,0xd4,0x04,0x03]

v_mad_i16 v255, 0xfe0b, vcc_hi, null op_sel:[0,0,0,1] clamp
// GFX13: v_mad_i16 v255, 0xfe0b, vcc_hi, null op_sel:[0,0,0,1] clamp ; encoding: [0xff,0xc0,0x5e,0xd7,0xff,0xd6,0xf0,0x01,0x0b,0xfe,0x00,0x00]

v_mad_i32_i16 v5, v1, v2, v3
// GFX13: v_mad_i32_i16 v5, v1, v2, v3            ; encoding: [0x05,0x00,0x75,0xd7,0x01,0x05,0x0e,0x04]

v_mad_i32_i16 v5, v255, v255, s3
// GFX13: v_mad_i32_i16 v5, v255, v255, s3        ; encoding: [0x05,0x00,0x75,0xd7,0xff,0xff,0x0f,0x00]

v_mad_i32_i16 v5, s1, s2, v255
// GFX13: v_mad_i32_i16 v5, s1, s2, v255          ; encoding: [0x05,0x00,0x75,0xd7,0x01,0x04,0xfc,0x07]

v_mad_i32_i16 v5, s105, s105, s105
// GFX13: v_mad_i32_i16 v5, s105, s105, s105      ; encoding: [0x05,0x00,0x75,0xd7,0x69,0xd2,0xa4,0x01]

v_mad_i32_i16 v5, vcc_lo, ttmp15, vcc_lo
// GFX13: v_mad_i32_i16 v5, vcc_lo, ttmp15, vcc_lo ; encoding: [0x05,0x00,0x75,0xd7,0x6a,0xf6,0xa8,0x01]

v_mad_i32_i16 v5, vcc_hi, 0xfe0b, vcc_hi
// GFX13: v_mad_i32_i16 v5, vcc_hi, 0xfe0b, vcc_hi ; encoding: [0x05,0x00,0x75,0xd7,0x6b,0xfe,0xad,0x01,0x0b,0xfe,0x00,0x00]

v_mad_i32_i16 v5, ttmp15, src_scc, ttmp15
// GFX13: v_mad_i32_i16 v5, ttmp15, src_scc, ttmp15 ; encoding: [0x05,0x00,0x75,0xd7,0x7b,0xfa,0xed,0x01]

v_mad_i32_i16 v5, m0, 0.5, m0
// GFX13: v_mad_i32_i16 v5, m0, 0.5, m0           ; encoding: [0x05,0x00,0x75,0xd7,0x7d,0xe0,0xf5,0x01]

v_mad_i32_i16 v5, exec_lo, -1, exec_hi
// GFX13: v_mad_i32_i16 v5, exec_lo, -1, exec_hi  ; encoding: [0x05,0x00,0x75,0xd7,0x7e,0x82,0xfd,0x01]

v_mad_i32_i16 v5, exec_hi, null, exec_lo
// GFX13: v_mad_i32_i16 v5, exec_hi, null, exec_lo ; encoding: [0x05,0x00,0x75,0xd7,0x7f,0xf8,0xf8,0x01]

v_mad_i32_i16 v5, null, exec_lo, null
// GFX13: v_mad_i32_i16 v5, null, exec_lo, null   ; encoding: [0x05,0x00,0x75,0xd7,0x7c,0xfc,0xf0,0x01]

v_mad_i32_i16 v5, -1, exec_hi, 0xaf123456
// GFX13: v_mad_i32_i16 v5, -1, exec_hi, 0xaf123456 ; encoding: [0x05,0x00,0x75,0xd7,0xc1,0xfe,0xfc,0x03,0x56,0x34,0x12,0xaf]

v_mad_i32_i16 v5, 0.5, m0, -1 op_sel:[0,0,0,0]
// GFX13: v_mad_i32_i16 v5, 0.5, m0, -1           ; encoding: [0x05,0x00,0x75,0xd7,0xf0,0xfa,0x04,0x03]

v_mad_i32_i16 v5, src_scc, vcc_lo, src_scc op_sel:[1,0,0,0]
// GFX13: v_mad_i32_i16 v5, src_scc, vcc_lo, src_scc op_sel:[1,0,0,0] ; encoding: [0x05,0x08,0x75,0xd7,0xfd,0xd4,0xf4,0x03]

v_mad_i32_i16 v255, 0xfe0b, vcc_hi, 0.5 op_sel:[0,1,0,0] clamp
// GFX13: v_mad_i32_i16 v255, 0xfe0b, vcc_hi, 0.5 op_sel:[0,1,0,0] clamp ; encoding: [0xff,0x90,0x75,0xd7,0xff,0xd6,0xc0,0x03,0x0b,0xfe,0x00,0x00]

v_mad_i32_i24 v5, v1, v2, s3
// GFX13: v_mad_i32_i24 v5, v1, v2, s3            ; encoding: [0x05,0x00,0x0a,0xd6,0x01,0x05,0x0e,0x00]

v_mad_i32_i24 v5, v255, s2, s105
// GFX13: v_mad_i32_i24 v5, v255, s2, s105        ; encoding: [0x05,0x00,0x0a,0xd6,0xff,0x05,0xa4,0x01]

v_mad_i32_i24 v5, s1, v255, exec_hi
// GFX13: v_mad_i32_i24 v5, s1, v255, exec_hi     ; encoding: [0x05,0x00,0x0a,0xd6,0x01,0xfe,0xff,0x01]

v_mad_i32_i24 v5, s105, s105, exec_lo
// GFX13: v_mad_i32_i24 v5, s105, s105, exec_lo   ; encoding: [0x05,0x00,0x0a,0xd6,0x69,0xd2,0xf8,0x01]

v_mad_i32_i24 v5, vcc_lo, ttmp15, v3
// GFX13: v_mad_i32_i24 v5, vcc_lo, ttmp15, v3    ; encoding: [0x05,0x00,0x0a,0xd6,0x6a,0xf6,0x0c,0x04]

v_mad_i32_i24 v5, vcc_hi, 0xaf123456, v255
// GFX13: v_mad_i32_i24 v5, vcc_hi, 0xaf123456, v255 ; encoding: [0x05,0x00,0x0a,0xd6,0x6b,0xfe,0xfd,0x07,0x56,0x34,0x12,0xaf]

v_mad_i32_i24 v5, ttmp15, src_scc, ttmp15
// GFX13: v_mad_i32_i24 v5, ttmp15, src_scc, ttmp15 ; encoding: [0x05,0x00,0x0a,0xd6,0x7b,0xfa,0xed,0x01]

v_mad_i32_i24 v5, m0, 0.5, m0
// GFX13: v_mad_i32_i24 v5, m0, 0.5, m0           ; encoding: [0x05,0x00,0x0a,0xd6,0x7d,0xe0,0xf5,0x01]

v_mad_i32_i24 v5, exec_lo, -1, vcc_hi
// GFX13: v_mad_i32_i24 v5, exec_lo, -1, vcc_hi   ; encoding: [0x05,0x00,0x0a,0xd6,0x7e,0x82,0xad,0x01]

v_mad_i32_i24 v5, exec_hi, null, vcc_lo
// GFX13: v_mad_i32_i24 v5, exec_hi, null, vcc_lo ; encoding: [0x05,0x00,0x0a,0xd6,0x7f,0xf8,0xa8,0x01]

v_mad_i32_i24 v5, null, exec_lo, 0xaf123456
// GFX13: v_mad_i32_i24 v5, null, exec_lo, 0xaf123456 ; encoding: [0x05,0x00,0x0a,0xd6,0x7c,0xfc,0xfc,0x03,0x56,0x34,0x12,0xaf]

v_mad_i32_i24 v5, -1, exec_hi, src_scc
// GFX13: v_mad_i32_i24 v5, -1, exec_hi, src_scc  ; encoding: [0x05,0x00,0x0a,0xd6,0xc1,0xfe,0xf4,0x03]

v_mad_i32_i24 v5, 0.5, m0, 0.5
// GFX13: v_mad_i32_i24 v5, 0.5, m0, 0.5          ; encoding: [0x05,0x00,0x0a,0xd6,0xf0,0xfa,0xc0,0x03]

v_mad_i32_i24 v5, src_scc, vcc_lo, -1
// GFX13: v_mad_i32_i24 v5, src_scc, vcc_lo, -1   ; encoding: [0x05,0x00,0x0a,0xd6,0xfd,0xd4,0x04,0x03]

v_mad_i32_i24 v255, 0xaf123456, vcc_hi, null clamp
// GFX13: v_mad_i32_i24 v255, 0xaf123456, vcc_hi, null clamp ; encoding: [0xff,0x80,0x0a,0xd6,0xff,0xd6,0xf0,0x01,0x56,0x34,0x12,0xaf]

v_mad_co_i64_i32 v[5:6], s6, s105, s105, s[6:7]
// W32: v_mad_co_i64_i32 v[5:6], s6, s105, s105, s[6:7] ; encoding: [0x05,0x06,0xf9,0xd6,0x69,0xd2,0x18,0x00]
// W64-ERR: :[[@LINE-2]]:26: error: invalid operand for instruction

v_mad_co_i64_i32 v[5:6], s6, ttmp15, ttmp15, s[104:105]
// W32: v_mad_co_i64_i32 v[5:6], s6, ttmp15, ttmp15, s[104:105] ; encoding: [0x05,0x06,0xf9,0xd6,0x7b,0xf6,0xa0,0x01]
// W64-ERR: :[[@LINE-2]]:26: error: invalid operand for instruction

v_mad_co_i64_i32 v[5:6], s6, m0, 0.5, ttmp[14:15]
// W32: v_mad_co_i64_i32 v[5:6], s6, m0, 0.5, ttmp[14:15] ; encoding: [0x05,0x06,0xf9,0xd6,0x7d,0xe0,0xe9,0x01]
// W64-ERR: :[[@LINE-2]]:26: error: invalid operand for instruction

v_mad_co_i64_i32 v[5:6], s6, exec_lo, -1, exec
// W32: v_mad_co_i64_i32 v[5:6], s6, exec_lo, -1, exec ; encoding: [0x05,0x06,0xf9,0xd6,0x7e,0x82,0xf9,0x01]
// W64-ERR: :[[@LINE-2]]:26: error: invalid operand for instruction

v_mad_co_i64_i32 v[5:6], s6, exec_hi, null, vcc
// W32: v_mad_co_i64_i32 v[5:6], s6, exec_hi, null, vcc ; encoding: [0x05,0x06,0xf9,0xd6,0x7f,0xf8,0xa8,0x01]
// W64-ERR: :[[@LINE-2]]:26: error: invalid operand for instruction

v_mad_co_i64_i32 v[5:6], s105, null, exec_lo, null
// W32: v_mad_co_i64_i32 v[5:6], s105, null, exec_lo, null ; encoding: [0x05,0x69,0xf9,0xd6,0x7c,0xfc,0xf0,0x01]
// W64-ERR: :[[@LINE-2]]:26: error: invalid operand for instruction

v_mad_co_i64_i32 v[5:6], vcc_lo, -1, exec_hi, -1
// W32: v_mad_co_i64_i32 v[5:6], vcc_lo, -1, exec_hi, -1 ; encoding: [0x05,0x6a,0xf9,0xd6,0xc1,0xfe,0x04,0x03]
// W64-ERR: :[[@LINE-2]]:26: error: invalid operand for instruction

v_mad_co_i64_i32 v[5:6], vcc_hi, 0.5, m0, 0xaf123456
// W32: v_mad_co_i64_i32 v[5:6], vcc_hi, 0.5, m0, 0xaf123456 ; encoding: [0x05,0x6b,0xf9,0xd6,0xf0,0xfa,0xfc,0x03,0x56,0x34,0x12,0xaf]
// W64-ERR: :[[@LINE-2]]:26: error: invalid operand for instruction

v_mad_co_i64_i32 v[5:6], ttmp15, src_scc, vcc_lo, src_scc
// W32: v_mad_co_i64_i32 v[5:6], ttmp15, src_scc, vcc_lo, src_scc ; encoding: [0x05,0x7b,0xf9,0xd6,0xfd,0xd4,0xf4,0x03]
// W64-ERR: :[[@LINE-2]]:26: error: invalid operand for instruction

v_mad_co_i64_i32 v[5:6], s[12:13], s105, s105, s[6:7]
// W32-ERR: :[[@LINE-1]]:26: error: invalid operand for instruction
// W64: v_mad_co_i64_i32 v[5:6], s[12:13], s105, s105, s[6:7] ; encoding: [0x05,0x0c,0xf9,0xd6,0x69,0xd2,0x18,0x00]

v_mad_co_i64_i32 v[5:6], s[12:13], ttmp15, ttmp15, s[104:105]
// W32-ERR: :[[@LINE-1]]:26: error: invalid operand for instruction
// W64: v_mad_co_i64_i32 v[5:6], s[12:13], ttmp15, ttmp15, s[104:105] ; encoding: [0x05,0x0c,0xf9,0xd6,0x7b,0xf6,0xa0,0x01]

v_mad_co_i64_i32 v[5:6], s[12:13], m0, 0.5, ttmp[14:15]
// W32-ERR: :[[@LINE-1]]:26: error: invalid operand for instruction
// W64: v_mad_co_i64_i32 v[5:6], s[12:13], m0, 0.5, ttmp[14:15] ; encoding: [0x05,0x0c,0xf9,0xd6,0x7d,0xe0,0xe9,0x01]

v_mad_co_i64_i32 v[5:6], s[12:13], exec_lo, -1, exec
// W32-ERR: :[[@LINE-1]]:26: error: invalid operand for instruction
// W64: v_mad_co_i64_i32 v[5:6], s[12:13], exec_lo, -1, exec ; encoding: [0x05,0x0c,0xf9,0xd6,0x7e,0x82,0xf9,0x01]

v_mad_co_i64_i32 v[5:6], s[12:13], exec_hi, null, vcc
// W32-ERR: :[[@LINE-1]]:26: error: invalid operand for instruction
// W64: v_mad_co_i64_i32 v[5:6], s[12:13], exec_hi, null, vcc ; encoding: [0x05,0x0c,0xf9,0xd6,0x7f,0xf8,0xa8,0x01]

v_mad_co_i64_i32 v[5:6], s[12:13], null, exec_lo, null
// W32-ERR: :[[@LINE-1]]:26: error: invalid operand for instruction
// W64: v_mad_co_i64_i32 v[5:6], s[12:13], null, exec_lo, null ; encoding: [0x05,0x0c,0xf9,0xd6,0x7c,0xfc,0xf0,0x01]

v_mad_co_i64_i32 v[5:6], s[104:105], -1, exec_hi, -1
// W32-ERR: :[[@LINE-1]]:26: error: invalid operand for instruction
// W64: v_mad_co_i64_i32 v[5:6], s[104:105], -1, exec_hi, -1 ; encoding: [0x05,0x68,0xf9,0xd6,0xc1,0xfe,0x04,0x03]

v_mad_co_i64_i32 v[5:6], vcc, 0.5, m0, 0xaf123456
// W32-ERR: :[[@LINE-1]]:26: error: invalid operand for instruction
// W64: v_mad_co_i64_i32 v[5:6], vcc, 0.5, m0, 0xaf123456 ; encoding: [0x05,0x6a,0xf9,0xd6,0xf0,0xfa,0xfc,0x03,0x56,0x34,0x12,0xaf]

v_mad_co_i64_i32 v[5:6], ttmp[14:15], src_scc, vcc_lo, src_scc
// W32-ERR: :[[@LINE-1]]:26: error: invalid operand for instruction
// W64: v_mad_co_i64_i32 v[5:6], ttmp[14:15], src_scc, vcc_lo, src_scc ; encoding: [0x05,0x7a,0xf9,0xd6,0xfd,0xd4,0xf4,0x03]

v_mad_co_i64_i32 v[254:255], null, 0xaf123456, vcc_hi, 0.5 clamp
// GFX13: v_mad_co_i64_i32 v[254:255], null, 0xaf123456, vcc_hi, 0.5 clamp ; encoding: [0xfe,0xfc,0xf9,0xd6,0xff,0xd6,0xc0,0x03,0x56,0x34,0x12,0xaf]

v_mad_u16 v5, v1, v2, s3
// GFX13: v_mad_u16 v5, v1, v2, s3                ; encoding: [0x05,0x00,0x40,0xd7,0x01,0x05,0x0e,0x00]

v_mad_u16 v5, v255, s2, s105
// GFX13: v_mad_u16 v5, v255, s2, s105            ; encoding: [0x05,0x00,0x40,0xd7,0xff,0x05,0xa4,0x01]

v_mad_u16 v5, s1, v255, exec_hi
// GFX13: v_mad_u16 v5, s1, v255, exec_hi         ; encoding: [0x05,0x00,0x40,0xd7,0x01,0xfe,0xff,0x01]

v_mad_u16 v5, s105, s105, exec_lo
// GFX13: v_mad_u16 v5, s105, s105, exec_lo       ; encoding: [0x05,0x00,0x40,0xd7,0x69,0xd2,0xf8,0x01]

v_mad_u16 v5, vcc_lo, ttmp15, v3
// GFX13: v_mad_u16 v5, vcc_lo, ttmp15, v3        ; encoding: [0x05,0x00,0x40,0xd7,0x6a,0xf6,0x0c,0x04]

v_mad_u16 v5, vcc_hi, 0xfe0b, v255
// GFX13: v_mad_u16 v5, vcc_hi, 0xfe0b, v255      ; encoding: [0x05,0x00,0x40,0xd7,0x6b,0xfe,0xfd,0x07,0x0b,0xfe,0x00,0x00]

v_mad_u16 v5, ttmp15, src_scc, ttmp15
// GFX13: v_mad_u16 v5, ttmp15, src_scc, ttmp15   ; encoding: [0x05,0x00,0x40,0xd7,0x7b,0xfa,0xed,0x01]

v_mad_u16 v5, m0, 0.5, m0
// GFX13: v_mad_u16 v5, m0, 0.5, m0               ; encoding: [0x05,0x00,0x40,0xd7,0x7d,0xe0,0xf5,0x01]

v_mad_u16 v5, exec_lo, -1, vcc_hi
// GFX13: v_mad_u16 v5, exec_lo, -1, vcc_hi       ; encoding: [0x05,0x00,0x40,0xd7,0x7e,0x82,0xad,0x01]

v_mad_u16 v5, exec_hi, null, vcc_lo op_sel:[1,1,1,1]
// GFX13: v_mad_u16 v5, exec_hi, null, vcc_lo op_sel:[1,1,1,1] ; encoding: [0x05,0x78,0x40,0xd7,0x7f,0xf8,0xa8,0x01]

v_mad_u16 v5, null, exec_lo, 0xfe0b op_sel:[0,0,0,0]
// GFX13: v_mad_u16 v5, null, exec_lo, 0xfe0b     ; encoding: [0x05,0x00,0x40,0xd7,0x7c,0xfc,0xfc,0x03,0x0b,0xfe,0x00,0x00]

v_mad_u16 v5, -1, exec_hi, src_scc op_sel:[1,0,0,0]
// GFX13: v_mad_u16 v5, -1, exec_hi, src_scc op_sel:[1,0,0,0] ; encoding: [0x05,0x08,0x40,0xd7,0xc1,0xfe,0xf4,0x03]

v_mad_u16 v5, 0.5, m0, 0.5 op_sel:[0,1,0,0]
// GFX13: v_mad_u16 v5, 0.5, m0, 0.5 op_sel:[0,1,0,0] ; encoding: [0x05,0x10,0x40,0xd7,0xf0,0xfa,0xc0,0x03]

v_mad_u16 v5, src_scc, vcc_lo, -1 op_sel:[0,0,1,0]
// GFX13: v_mad_u16 v5, src_scc, vcc_lo, -1 op_sel:[0,0,1,0] ; encoding: [0x05,0x20,0x40,0xd7,0xfd,0xd4,0x04,0x03]

v_mad_u16 v255, 0xfe0b, vcc_hi, null op_sel:[0,0,0,1] clamp
// GFX13: v_mad_u16 v255, 0xfe0b, vcc_hi, null op_sel:[0,0,0,1] clamp ; encoding: [0xff,0xc0,0x40,0xd7,0xff,0xd6,0xf0,0x01,0x0b,0xfe,0x00,0x00]

v_mad_u32_u16 v5, v1, v2, v3
// GFX13: v_mad_u32_u16 v5, v1, v2, v3            ; encoding: [0x05,0x00,0x73,0xd7,0x01,0x05,0x0e,0x04]

v_mad_u32_u16 v5, v255, v255, s3
// GFX13: v_mad_u32_u16 v5, v255, v255, s3        ; encoding: [0x05,0x00,0x73,0xd7,0xff,0xff,0x0f,0x00]

v_mad_u32_u16 v5, s1, s2, v255
// GFX13: v_mad_u32_u16 v5, s1, s2, v255          ; encoding: [0x05,0x00,0x73,0xd7,0x01,0x04,0xfc,0x07]

v_mad_u32_u16 v5, s105, s105, s105
// GFX13: v_mad_u32_u16 v5, s105, s105, s105      ; encoding: [0x05,0x00,0x73,0xd7,0x69,0xd2,0xa4,0x01]

v_mad_u32_u16 v5, vcc_lo, ttmp15, vcc_lo
// GFX13: v_mad_u32_u16 v5, vcc_lo, ttmp15, vcc_lo ; encoding: [0x05,0x00,0x73,0xd7,0x6a,0xf6,0xa8,0x01]

v_mad_u32_u16 v5, vcc_hi, 0xfe0b, vcc_hi
// GFX13: v_mad_u32_u16 v5, vcc_hi, 0xfe0b, vcc_hi ; encoding: [0x05,0x00,0x73,0xd7,0x6b,0xfe,0xad,0x01,0x0b,0xfe,0x00,0x00]

v_mad_u32_u16 v5, ttmp15, src_scc, ttmp15
// GFX13: v_mad_u32_u16 v5, ttmp15, src_scc, ttmp15 ; encoding: [0x05,0x00,0x73,0xd7,0x7b,0xfa,0xed,0x01]

v_mad_u32_u16 v5, m0, 0.5, m0
// GFX13: v_mad_u32_u16 v5, m0, 0.5, m0           ; encoding: [0x05,0x00,0x73,0xd7,0x7d,0xe0,0xf5,0x01]

v_mad_u32_u16 v5, exec_lo, -1, exec_hi
// GFX13: v_mad_u32_u16 v5, exec_lo, -1, exec_hi  ; encoding: [0x05,0x00,0x73,0xd7,0x7e,0x82,0xfd,0x01]

v_mad_u32_u16 v5, exec_hi, null, exec_lo
// GFX13: v_mad_u32_u16 v5, exec_hi, null, exec_lo ; encoding: [0x05,0x00,0x73,0xd7,0x7f,0xf8,0xf8,0x01]

v_mad_u32_u16 v5, null, exec_lo, null
// GFX13: v_mad_u32_u16 v5, null, exec_lo, null   ; encoding: [0x05,0x00,0x73,0xd7,0x7c,0xfc,0xf0,0x01]

v_mad_u32_u16 v5, -1, exec_hi, 0xaf123456
// GFX13: v_mad_u32_u16 v5, -1, exec_hi, 0xaf123456 ; encoding: [0x05,0x00,0x73,0xd7,0xc1,0xfe,0xfc,0x03,0x56,0x34,0x12,0xaf]

v_mad_u32_u16 v5, 0.5, m0, -1 op_sel:[0,0,0,0]
// GFX13: v_mad_u32_u16 v5, 0.5, m0, -1           ; encoding: [0x05,0x00,0x73,0xd7,0xf0,0xfa,0x04,0x03]

v_mad_u32_u16 v5, src_scc, vcc_lo, src_scc op_sel:[1,0,0,0]
// GFX13: v_mad_u32_u16 v5, src_scc, vcc_lo, src_scc op_sel:[1,0,0,0] ; encoding: [0x05,0x08,0x73,0xd7,0xfd,0xd4,0xf4,0x03]

v_mad_u32_u16 v255, 0xfe0b, vcc_hi, 0.5 op_sel:[0,1,0,0] clamp
// GFX13: v_mad_u32_u16 v255, 0xfe0b, vcc_hi, 0.5 op_sel:[0,1,0,0] clamp ; encoding: [0xff,0x90,0x73,0xd7,0xff,0xd6,0xc0,0x03,0x0b,0xfe,0x00,0x00]

v_mad_u32_u24 v5, v1, v2, s3
// GFX13: v_mad_u32_u24 v5, v1, v2, s3            ; encoding: [0x05,0x00,0x0b,0xd6,0x01,0x05,0x0e,0x00]

v_mad_u32_u24 v5, v255, s2, s105
// GFX13: v_mad_u32_u24 v5, v255, s2, s105        ; encoding: [0x05,0x00,0x0b,0xd6,0xff,0x05,0xa4,0x01]

v_mad_u32_u24 v5, s1, v255, exec_hi
// GFX13: v_mad_u32_u24 v5, s1, v255, exec_hi     ; encoding: [0x05,0x00,0x0b,0xd6,0x01,0xfe,0xff,0x01]

v_mad_u32_u24 v5, s105, s105, exec_lo
// GFX13: v_mad_u32_u24 v5, s105, s105, exec_lo   ; encoding: [0x05,0x00,0x0b,0xd6,0x69,0xd2,0xf8,0x01]

v_mad_u32_u24 v5, vcc_lo, ttmp15, v3
// GFX13: v_mad_u32_u24 v5, vcc_lo, ttmp15, v3    ; encoding: [0x05,0x00,0x0b,0xd6,0x6a,0xf6,0x0c,0x04]

v_mad_u32_u24 v5, vcc_hi, 0xaf123456, v255
// GFX13: v_mad_u32_u24 v5, vcc_hi, 0xaf123456, v255 ; encoding: [0x05,0x00,0x0b,0xd6,0x6b,0xfe,0xfd,0x07,0x56,0x34,0x12,0xaf]

v_mad_u32_u24 v5, ttmp15, src_scc, ttmp15
// GFX13: v_mad_u32_u24 v5, ttmp15, src_scc, ttmp15 ; encoding: [0x05,0x00,0x0b,0xd6,0x7b,0xfa,0xed,0x01]

v_mad_u32_u24 v5, m0, 0.5, m0
// GFX13: v_mad_u32_u24 v5, m0, 0.5, m0           ; encoding: [0x05,0x00,0x0b,0xd6,0x7d,0xe0,0xf5,0x01]

v_mad_u32_u24 v5, exec_lo, -1, vcc_hi
// GFX13: v_mad_u32_u24 v5, exec_lo, -1, vcc_hi   ; encoding: [0x05,0x00,0x0b,0xd6,0x7e,0x82,0xad,0x01]

v_mad_u32_u24 v5, exec_hi, null, vcc_lo
// GFX13: v_mad_u32_u24 v5, exec_hi, null, vcc_lo ; encoding: [0x05,0x00,0x0b,0xd6,0x7f,0xf8,0xa8,0x01]

v_mad_u32_u24 v5, null, exec_lo, 0xaf123456
// GFX13: v_mad_u32_u24 v5, null, exec_lo, 0xaf123456 ; encoding: [0x05,0x00,0x0b,0xd6,0x7c,0xfc,0xfc,0x03,0x56,0x34,0x12,0xaf]

v_mad_u32_u24 v5, -1, exec_hi, src_scc
// GFX13: v_mad_u32_u24 v5, -1, exec_hi, src_scc  ; encoding: [0x05,0x00,0x0b,0xd6,0xc1,0xfe,0xf4,0x03]

v_mad_u32_u24 v5, 0.5, m0, 0.5
// GFX13: v_mad_u32_u24 v5, 0.5, m0, 0.5          ; encoding: [0x05,0x00,0x0b,0xd6,0xf0,0xfa,0xc0,0x03]

v_mad_u32_u24 v5, src_scc, vcc_lo, -1
// GFX13: v_mad_u32_u24 v5, src_scc, vcc_lo, -1   ; encoding: [0x05,0x00,0x0b,0xd6,0xfd,0xd4,0x04,0x03]

v_mad_u32_u24 v255, 0xaf123456, vcc_hi, null clamp
// GFX13: v_mad_u32_u24 v255, 0xaf123456, vcc_hi, null clamp ; encoding: [0xff,0x80,0x0b,0xd6,0xff,0xd6,0xf0,0x01,0x56,0x34,0x12,0xaf]

v_mad_co_u64_u32 v[5:6], s6, s105, s105, s[6:7]
// W32: v_mad_co_u64_u32 v[5:6], s6, s105, s105, s[6:7] ; encoding: [0x05,0x06,0xf8,0xd6,0x69,0xd2,0x18,0x00]
// W64-ERR: :[[@LINE-2]]:26: error: invalid operand for instruction

v_mad_co_u64_u32 v[5:6], s6, ttmp15, ttmp15, s[104:105]
// W32: v_mad_co_u64_u32 v[5:6], s6, ttmp15, ttmp15, s[104:105] ; encoding: [0x05,0x06,0xf8,0xd6,0x7b,0xf6,0xa0,0x01]
// W64-ERR: :[[@LINE-2]]:26: error: invalid operand for instruction

v_mad_co_u64_u32 v[5:6], s6, m0, 0.5, ttmp[14:15]
// W32: v_mad_co_u64_u32 v[5:6], s6, m0, 0.5, ttmp[14:15] ; encoding: [0x05,0x06,0xf8,0xd6,0x7d,0xe0,0xe9,0x01]
// W64-ERR: :[[@LINE-2]]:26: error: invalid operand for instruction

v_mad_co_u64_u32 v[5:6], s6, exec_lo, -1, exec
// W32: v_mad_co_u64_u32 v[5:6], s6, exec_lo, -1, exec ; encoding: [0x05,0x06,0xf8,0xd6,0x7e,0x82,0xf9,0x01]
// W64-ERR: :[[@LINE-2]]:26: error: invalid operand for instruction

v_mad_co_u64_u32 v[5:6], s6, exec_hi, null, vcc
// W32: v_mad_co_u64_u32 v[5:6], s6, exec_hi, null, vcc ; encoding: [0x05,0x06,0xf8,0xd6,0x7f,0xf8,0xa8,0x01]
// W64-ERR: :[[@LINE-2]]:26: error: invalid operand for instruction

v_mad_co_u64_u32 v[5:6], s105, null, exec_lo, null
// W32: v_mad_co_u64_u32 v[5:6], s105, null, exec_lo, null ; encoding: [0x05,0x69,0xf8,0xd6,0x7c,0xfc,0xf0,0x01]
// W64-ERR: :[[@LINE-2]]:26: error: invalid operand for instruction

v_mad_co_u64_u32 v[5:6], vcc_lo, -1, exec_hi, -1
// W32: v_mad_co_u64_u32 v[5:6], vcc_lo, -1, exec_hi, -1 ; encoding: [0x05,0x6a,0xf8,0xd6,0xc1,0xfe,0x04,0x03]
// W64-ERR: :[[@LINE-2]]:26: error: invalid operand for instruction

v_mad_co_u64_u32 v[5:6], vcc_hi, 0.5, m0, 0xaf123456
// W32: v_mad_co_u64_u32 v[5:6], vcc_hi, 0.5, m0, 0xaf123456 ; encoding: [0x05,0x6b,0xf8,0xd6,0xf0,0xfa,0xfc,0x03,0x56,0x34,0x12,0xaf]
// W64-ERR: :[[@LINE-2]]:26: error: invalid operand for instruction

v_mad_co_u64_u32 v[5:6], ttmp15, src_scc, vcc_lo, src_scc
// W32: v_mad_co_u64_u32 v[5:6], ttmp15, src_scc, vcc_lo, src_scc ; encoding: [0x05,0x7b,0xf8,0xd6,0xfd,0xd4,0xf4,0x03]
// W64-ERR: :[[@LINE-2]]:26: error: invalid operand for instruction

v_mad_co_u64_u32 v[5:6], s[12:13], s105, s105, s[6:7]
// W32-ERR: :[[@LINE-1]]:26: error: invalid operand for instruction
// W64: v_mad_co_u64_u32 v[5:6], s[12:13], s105, s105, s[6:7] ; encoding: [0x05,0x0c,0xf8,0xd6,0x69,0xd2,0x18,0x00]

v_mad_co_u64_u32 v[5:6], s[12:13], ttmp15, ttmp15, s[104:105]
// W32-ERR: :[[@LINE-1]]:26: error: invalid operand for instruction
// W64: v_mad_co_u64_u32 v[5:6], s[12:13], ttmp15, ttmp15, s[104:105] ; encoding: [0x05,0x0c,0xf8,0xd6,0x7b,0xf6,0xa0,0x01]

v_mad_co_u64_u32 v[5:6], s[12:13], m0, 0.5, ttmp[14:15]
// W32-ERR: :[[@LINE-1]]:26: error: invalid operand for instruction
// W64: v_mad_co_u64_u32 v[5:6], s[12:13], m0, 0.5, ttmp[14:15] ; encoding: [0x05,0x0c,0xf8,0xd6,0x7d,0xe0,0xe9,0x01]

v_mad_co_u64_u32 v[5:6], s[12:13], exec_lo, -1, exec
// W32-ERR: :[[@LINE-1]]:26: error: invalid operand for instruction
// W64: v_mad_co_u64_u32 v[5:6], s[12:13], exec_lo, -1, exec ; encoding: [0x05,0x0c,0xf8,0xd6,0x7e,0x82,0xf9,0x01]

v_mad_co_u64_u32 v[5:6], s[12:13], exec_hi, null, vcc
// W32-ERR: :[[@LINE-1]]:26: error: invalid operand for instruction
// W64: v_mad_co_u64_u32 v[5:6], s[12:13], exec_hi, null, vcc ; encoding: [0x05,0x0c,0xf8,0xd6,0x7f,0xf8,0xa8,0x01]

v_mad_co_u64_u32 v[5:6], s[12:13], null, exec_lo, null
// W32-ERR: :[[@LINE-1]]:26: error: invalid operand for instruction
// W64: v_mad_co_u64_u32 v[5:6], s[12:13], null, exec_lo, null ; encoding: [0x05,0x0c,0xf8,0xd6,0x7c,0xfc,0xf0,0x01]

v_mad_co_u64_u32 v[5:6], s[104:105], -1, exec_hi, -1
// W32-ERR: :[[@LINE-1]]:26: error: invalid operand for instruction
// W64: v_mad_co_u64_u32 v[5:6], s[104:105], -1, exec_hi, -1 ; encoding: [0x05,0x68,0xf8,0xd6,0xc1,0xfe,0x04,0x03]

v_mad_co_u64_u32 v[5:6], vcc, 0.5, m0, 0xaf123456
// W32-ERR: :[[@LINE-1]]:26: error: invalid operand for instruction
// W64: v_mad_co_u64_u32 v[5:6], vcc, 0.5, m0, 0xaf123456 ; encoding: [0x05,0x6a,0xf8,0xd6,0xf0,0xfa,0xfc,0x03,0x56,0x34,0x12,0xaf]

v_mad_co_u64_u32 v[5:6], ttmp[14:15], src_scc, vcc_lo, src_scc
// W32-ERR: :[[@LINE-1]]:26: error: invalid operand for instruction
// W64: v_mad_co_u64_u32 v[5:6], ttmp[14:15], src_scc, vcc_lo, src_scc ; encoding: [0x05,0x7a,0xf8,0xd6,0xfd,0xd4,0xf4,0x03]

v_mad_co_u64_u32 v[254:255], null, 0xaf123456, vcc_hi, 0.5 clamp
// GFX13: v_mad_co_u64_u32 v[254:255], null, 0xaf123456, vcc_hi, 0.5 clamp ; encoding: [0xfe,0xfc,0xf8,0xd6,0xff,0xd6,0xc0,0x03,0x56,0x34,0x12,0xaf]

v_max3_num_f16 v5, v1, v2, s3
// GFX13: v_max3_num_f16 v5, v1, v2, s3           ; encoding: [0x05,0x00,0x54,0xd7,0x01,0x05,0x0e,0x00]

v_max3_num_f16 v5, v255, s2, s105
// GFX13: v_max3_num_f16 v5, v255, s2, s105       ; encoding: [0x05,0x00,0x54,0xd7,0xff,0x05,0xa4,0x01]

v_max3_num_f16 v5, s1, v255, exec_hi
// GFX13: v_max3_num_f16 v5, s1, v255, exec_hi    ; encoding: [0x05,0x00,0x54,0xd7,0x01,0xfe,0xff,0x01]

v_max3_num_f16 v5, s105, s105, exec_lo
// GFX13: v_max3_num_f16 v5, s105, s105, exec_lo  ; encoding: [0x05,0x00,0x54,0xd7,0x69,0xd2,0xf8,0x01]

v_max3_num_f16 v5, vcc_lo, ttmp15, v3
// GFX13: v_max3_num_f16 v5, vcc_lo, ttmp15, v3   ; encoding: [0x05,0x00,0x54,0xd7,0x6a,0xf6,0x0c,0x04]

v_max3_num_f16 v5, vcc_hi, 0xfe0b, v255
// GFX13: v_max3_num_f16 v5, vcc_hi, 0xfe0b, v255 ; encoding: [0x05,0x00,0x54,0xd7,0x6b,0xfe,0xfd,0x07,0x0b,0xfe,0x00,0x00]

v_max3_num_f16 v5, -|ttmp15|, -|src_scc|, -|ttmp15|
// GFX13: v_max3_num_f16 v5, -|ttmp15|, -|src_scc|, -|ttmp15| ; encoding: [0x05,0x07,0x54,0xd7,0x7b,0xfa,0xed,0xe1]

v_max3_num_f16 v5, m0, 0.5, m0
// GFX13: v_max3_num_f16 v5, m0, 0.5, m0          ; encoding: [0x05,0x00,0x54,0xd7,0x7d,0xe0,0xf5,0x01]

v_max3_num_f16 v5, |exec_lo|, -1, vcc_hi
// GFX13: v_max3_num_f16 v5, |exec_lo|, -1, vcc_hi ; encoding: [0x05,0x01,0x54,0xd7,0x7e,0x82,0xad,0x01]

v_max3_num_f16 v5, -|exec_hi|, null, -|vcc_lo| op_sel:[1,1,1,1]
// GFX13: v_max3_num_f16 v5, -|exec_hi|, null, -|vcc_lo| op_sel:[1,1,1,1] ; encoding: [0x05,0x7d,0x54,0xd7,0x7f,0xf8,0xa8,0xa1]

v_max3_num_f16 v5, null, exec_lo, -|0xfe0b| op_sel:[0,0,0,0]
// GFX13: v_max3_num_f16 v5, null, exec_lo, -|0xfe0b| ; encoding: [0x05,0x04,0x54,0xd7,0x7c,0xfc,0xfc,0x83,0x0b,0xfe,0x00,0x00]

v_max3_num_f16 v5, -1, -|exec_hi|, -|src_scc| op_sel:[1,0,0,0]
// GFX13: v_max3_num_f16 v5, -1, -|exec_hi|, -|src_scc| op_sel:[1,0,0,0] ; encoding: [0x05,0x0e,0x54,0xd7,0xc1,0xfe,0xf4,0xc3]

v_max3_num_f16 v5, 0.5, -m0, 0.5 op_sel:[0,1,0,0]
// GFX13: v_max3_num_f16 v5, 0.5, -m0, 0.5 op_sel:[0,1,0,0] ; encoding: [0x05,0x10,0x54,0xd7,0xf0,0xfa,0xc0,0x43]

v_max3_num_f16 v5, -src_scc, |vcc_lo|, -1 op_sel:[0,0,1,0]
// GFX13: v_max3_num_f16 v5, -src_scc, |vcc_lo|, -1 op_sel:[0,0,1,0] ; encoding: [0x05,0x22,0x54,0xd7,0xfd,0xd4,0x04,0x23]

v_max3_num_f16 v255, -|0xfe0b|, -|vcc_hi|, null op_sel:[0,0,0,1] clamp
// GFX13: v_max3_num_f16 v255, -|0xfe0b|, -|vcc_hi|, null op_sel:[0,0,0,1] clamp ; encoding: [0xff,0xc3,0x54,0xd7,0xff,0xd6,0xf0,0x61,0x0b,0xfe,0x00,0x00]

v_max3_num_f32 v5, v1, v2, s3
// GFX13: v_max3_num_f32 v5, v1, v2, s3           ; encoding: [0x05,0x00,0x2a,0xd6,0x01,0x05,0x0e,0x00]

v_max3_num_f32 v5, v255, s2, s105
// GFX13: v_max3_num_f32 v5, v255, s2, s105       ; encoding: [0x05,0x00,0x2a,0xd6,0xff,0x05,0xa4,0x01]

v_max3_num_f32 v5, s1, v255, exec_hi
// GFX13: v_max3_num_f32 v5, s1, v255, exec_hi    ; encoding: [0x05,0x00,0x2a,0xd6,0x01,0xfe,0xff,0x01]

v_max3_num_f32 v5, s105, s105, exec_lo
// GFX13: v_max3_num_f32 v5, s105, s105, exec_lo  ; encoding: [0x05,0x00,0x2a,0xd6,0x69,0xd2,0xf8,0x01]

v_max3_num_f32 v5, vcc_lo, ttmp15, v3
// GFX13: v_max3_num_f32 v5, vcc_lo, ttmp15, v3   ; encoding: [0x05,0x00,0x2a,0xd6,0x6a,0xf6,0x0c,0x04]

v_max3_num_f32 v5, vcc_hi, 0xaf123456, v255
// GFX13: v_max3_num_f32 v5, vcc_hi, 0xaf123456, v255 ; encoding: [0x05,0x00,0x2a,0xd6,0x6b,0xfe,0xfd,0x07,0x56,0x34,0x12,0xaf]

v_max3_num_f32 v5, -|ttmp15|, -|src_scc|, -|ttmp15|
// GFX13: v_max3_num_f32 v5, -|ttmp15|, -|src_scc|, -|ttmp15| ; encoding: [0x05,0x07,0x2a,0xd6,0x7b,0xfa,0xed,0xe1]

v_max3_num_f32 v5, m0, 0.5, m0
// GFX13: v_max3_num_f32 v5, m0, 0.5, m0          ; encoding: [0x05,0x00,0x2a,0xd6,0x7d,0xe0,0xf5,0x01]

v_max3_num_f32 v5, |exec_lo|, -1, vcc_hi
// GFX13: v_max3_num_f32 v5, |exec_lo|, -1, vcc_hi ; encoding: [0x05,0x01,0x2a,0xd6,0x7e,0x82,0xad,0x01]

v_max3_num_f32 v5, -|exec_hi|, null, -|vcc_lo|
// GFX13: v_max3_num_f32 v5, -|exec_hi|, null, -|vcc_lo| ; encoding: [0x05,0x05,0x2a,0xd6,0x7f,0xf8,0xa8,0xa1]

v_max3_num_f32 v5, null, exec_lo, -|0xaf123456|
// GFX13: v_max3_num_f32 v5, null, exec_lo, -|0xaf123456| ; encoding: [0x05,0x04,0x2a,0xd6,0x7c,0xfc,0xfc,0x83,0x56,0x34,0x12,0xaf]

v_max3_num_f32 v5, -1, -|exec_hi|, -|src_scc|
// GFX13: v_max3_num_f32 v5, -1, -|exec_hi|, -|src_scc| ; encoding: [0x05,0x06,0x2a,0xd6,0xc1,0xfe,0xf4,0xc3]

v_max3_num_f32 v5, 0.5, -m0, 0.5 mul:2
// GFX13: v_max3_num_f32 v5, 0.5, -m0, 0.5 mul:2  ; encoding: [0x05,0x00,0x2a,0xd6,0xf0,0xfa,0xc0,0x4b]

v_max3_num_f32 v5, -src_scc, |vcc_lo|, -1 mul:4
// GFX13: v_max3_num_f32 v5, -src_scc, |vcc_lo|, -1 mul:4 ; encoding: [0x05,0x02,0x2a,0xd6,0xfd,0xd4,0x04,0x33]

v_max3_num_f32 v255, -|0xaf123456|, -|vcc_hi|, null clamp div:2
// GFX13: v_max3_num_f32 v255, -|0xaf123456|, -|vcc_hi|, null clamp div:2 ; encoding: [0xff,0x83,0x2a,0xd6,0xff,0xd6,0xf0,0x79,0x56,0x34,0x12,0xaf]

v_max3_i16 v5, v1, v2, s3
// GFX13: v_max3_i16 v5, v1, v2, s3               ; encoding: [0x05,0x00,0x55,0xd7,0x01,0x05,0x0e,0x00]

v_max3_i16 v5, v255, s2, s105
// GFX13: v_max3_i16 v5, v255, s2, s105           ; encoding: [0x05,0x00,0x55,0xd7,0xff,0x05,0xa4,0x01]

v_max3_i16 v5, s1, v255, exec_hi
// GFX13: v_max3_i16 v5, s1, v255, exec_hi        ; encoding: [0x05,0x00,0x55,0xd7,0x01,0xfe,0xff,0x01]

v_max3_i16 v5, s105, s105, exec_lo
// GFX13: v_max3_i16 v5, s105, s105, exec_lo      ; encoding: [0x05,0x00,0x55,0xd7,0x69,0xd2,0xf8,0x01]

v_max3_i16 v5, vcc_lo, ttmp15, v3
// GFX13: v_max3_i16 v5, vcc_lo, ttmp15, v3       ; encoding: [0x05,0x00,0x55,0xd7,0x6a,0xf6,0x0c,0x04]

v_max3_i16 v5, vcc_hi, 0xfe0b, v255
// GFX13: v_max3_i16 v5, vcc_hi, 0xfe0b, v255     ; encoding: [0x05,0x00,0x55,0xd7,0x6b,0xfe,0xfd,0x07,0x0b,0xfe,0x00,0x00]

v_max3_i16 v5, ttmp15, src_scc, ttmp15
// GFX13: v_max3_i16 v5, ttmp15, src_scc, ttmp15  ; encoding: [0x05,0x00,0x55,0xd7,0x7b,0xfa,0xed,0x01]

v_max3_i16 v5, m0, 0.5, m0
// GFX13: v_max3_i16 v5, m0, 0.5, m0              ; encoding: [0x05,0x00,0x55,0xd7,0x7d,0xe0,0xf5,0x01]

v_max3_i16 v5, exec_lo, -1, vcc_hi
// GFX13: v_max3_i16 v5, exec_lo, -1, vcc_hi      ; encoding: [0x05,0x00,0x55,0xd7,0x7e,0x82,0xad,0x01]

v_max3_i16 v5, exec_hi, null, vcc_lo op_sel:[1,1,1,1]
// GFX13: v_max3_i16 v5, exec_hi, null, vcc_lo op_sel:[1,1,1,1] ; encoding: [0x05,0x78,0x55,0xd7,0x7f,0xf8,0xa8,0x01]

v_max3_i16 v5, null, exec_lo, 0xfe0b op_sel:[0,0,0,0]
// GFX13: v_max3_i16 v5, null, exec_lo, 0xfe0b    ; encoding: [0x05,0x00,0x55,0xd7,0x7c,0xfc,0xfc,0x03,0x0b,0xfe,0x00,0x00]

v_max3_i16 v5, -1, exec_hi, src_scc op_sel:[1,0,0,0]
// GFX13: v_max3_i16 v5, -1, exec_hi, src_scc op_sel:[1,0,0,0] ; encoding: [0x05,0x08,0x55,0xd7,0xc1,0xfe,0xf4,0x03]

v_max3_i16 v5, 0.5, m0, 0.5 op_sel:[0,1,0,0]
// GFX13: v_max3_i16 v5, 0.5, m0, 0.5 op_sel:[0,1,0,0] ; encoding: [0x05,0x10,0x55,0xd7,0xf0,0xfa,0xc0,0x03]

v_max3_i16 v5, src_scc, vcc_lo, -1 op_sel:[0,0,1,0]
// GFX13: v_max3_i16 v5, src_scc, vcc_lo, -1 op_sel:[0,0,1,0] ; encoding: [0x05,0x20,0x55,0xd7,0xfd,0xd4,0x04,0x03]

v_max3_i16 v255, 0xfe0b, vcc_hi, null op_sel:[0,0,0,1]
// GFX13: v_max3_i16 v255, 0xfe0b, vcc_hi, null op_sel:[0,0,0,1] ; encoding: [0xff,0x40,0x55,0xd7,0xff,0xd6,0xf0,0x01,0x0b,0xfe,0x00,0x00]

v_max3_i32 v5, v1, v2, s3
// GFX13: v_max3_i32 v5, v1, v2, s3               ; encoding: [0x05,0x00,0x1d,0xd6,0x01,0x05,0x0e,0x00]

v_max3_i32 v5, v255, s2, s105
// GFX13: v_max3_i32 v5, v255, s2, s105           ; encoding: [0x05,0x00,0x1d,0xd6,0xff,0x05,0xa4,0x01]

v_max3_i32 v5, s1, v255, exec_hi
// GFX13: v_max3_i32 v5, s1, v255, exec_hi        ; encoding: [0x05,0x00,0x1d,0xd6,0x01,0xfe,0xff,0x01]

v_max3_i32 v5, s105, s105, exec_lo
// GFX13: v_max3_i32 v5, s105, s105, exec_lo      ; encoding: [0x05,0x00,0x1d,0xd6,0x69,0xd2,0xf8,0x01]

v_max3_i32 v5, vcc_lo, ttmp15, v3
// GFX13: v_max3_i32 v5, vcc_lo, ttmp15, v3       ; encoding: [0x05,0x00,0x1d,0xd6,0x6a,0xf6,0x0c,0x04]

v_max3_i32 v5, vcc_hi, 0xaf123456, v255
// GFX13: v_max3_i32 v5, vcc_hi, 0xaf123456, v255 ; encoding: [0x05,0x00,0x1d,0xd6,0x6b,0xfe,0xfd,0x07,0x56,0x34,0x12,0xaf]

v_max3_i32 v5, ttmp15, src_scc, ttmp15
// GFX13: v_max3_i32 v5, ttmp15, src_scc, ttmp15  ; encoding: [0x05,0x00,0x1d,0xd6,0x7b,0xfa,0xed,0x01]

v_max3_i32 v5, m0, 0.5, m0
// GFX13: v_max3_i32 v5, m0, 0.5, m0              ; encoding: [0x05,0x00,0x1d,0xd6,0x7d,0xe0,0xf5,0x01]

v_max3_i32 v5, exec_lo, -1, vcc_hi
// GFX13: v_max3_i32 v5, exec_lo, -1, vcc_hi      ; encoding: [0x05,0x00,0x1d,0xd6,0x7e,0x82,0xad,0x01]

v_max3_i32 v5, exec_hi, null, vcc_lo
// GFX13: v_max3_i32 v5, exec_hi, null, vcc_lo    ; encoding: [0x05,0x00,0x1d,0xd6,0x7f,0xf8,0xa8,0x01]

v_max3_i32 v5, null, exec_lo, 0xaf123456
// GFX13: v_max3_i32 v5, null, exec_lo, 0xaf123456 ; encoding: [0x05,0x00,0x1d,0xd6,0x7c,0xfc,0xfc,0x03,0x56,0x34,0x12,0xaf]

v_max3_i32 v5, -1, exec_hi, src_scc
// GFX13: v_max3_i32 v5, -1, exec_hi, src_scc     ; encoding: [0x05,0x00,0x1d,0xd6,0xc1,0xfe,0xf4,0x03]

v_max3_i32 v5, 0.5, m0, 0.5
// GFX13: v_max3_i32 v5, 0.5, m0, 0.5             ; encoding: [0x05,0x00,0x1d,0xd6,0xf0,0xfa,0xc0,0x03]

v_max3_i32 v5, src_scc, vcc_lo, -1
// GFX13: v_max3_i32 v5, src_scc, vcc_lo, -1      ; encoding: [0x05,0x00,0x1d,0xd6,0xfd,0xd4,0x04,0x03]

v_max3_i32 v255, 0xaf123456, vcc_hi, null
// GFX13: v_max3_i32 v255, 0xaf123456, vcc_hi, null ; encoding: [0xff,0x00,0x1d,0xd6,0xff,0xd6,0xf0,0x01,0x56,0x34,0x12,0xaf]

v_max3_u16 v5, v1, v2, s3
// GFX13: v_max3_u16 v5, v1, v2, s3               ; encoding: [0x05,0x00,0x56,0xd7,0x01,0x05,0x0e,0x00]

v_max3_u16 v5, v255, s2, s105
// GFX13: v_max3_u16 v5, v255, s2, s105           ; encoding: [0x05,0x00,0x56,0xd7,0xff,0x05,0xa4,0x01]

v_max3_u16 v5, s1, v255, exec_hi
// GFX13: v_max3_u16 v5, s1, v255, exec_hi        ; encoding: [0x05,0x00,0x56,0xd7,0x01,0xfe,0xff,0x01]

v_max3_u16 v5, s105, s105, exec_lo
// GFX13: v_max3_u16 v5, s105, s105, exec_lo      ; encoding: [0x05,0x00,0x56,0xd7,0x69,0xd2,0xf8,0x01]

v_max3_u16 v5, vcc_lo, ttmp15, v3
// GFX13: v_max3_u16 v5, vcc_lo, ttmp15, v3       ; encoding: [0x05,0x00,0x56,0xd7,0x6a,0xf6,0x0c,0x04]

v_max3_u16 v5, vcc_hi, 0xfe0b, v255
// GFX13: v_max3_u16 v5, vcc_hi, 0xfe0b, v255     ; encoding: [0x05,0x00,0x56,0xd7,0x6b,0xfe,0xfd,0x07,0x0b,0xfe,0x00,0x00]

v_max3_u16 v5, ttmp15, src_scc, ttmp15
// GFX13: v_max3_u16 v5, ttmp15, src_scc, ttmp15  ; encoding: [0x05,0x00,0x56,0xd7,0x7b,0xfa,0xed,0x01]

v_max3_u16 v5, m0, 0.5, m0
// GFX13: v_max3_u16 v5, m0, 0.5, m0              ; encoding: [0x05,0x00,0x56,0xd7,0x7d,0xe0,0xf5,0x01]

v_max3_u16 v5, exec_lo, -1, vcc_hi
// GFX13: v_max3_u16 v5, exec_lo, -1, vcc_hi      ; encoding: [0x05,0x00,0x56,0xd7,0x7e,0x82,0xad,0x01]

v_max3_u16 v5, exec_hi, null, vcc_lo op_sel:[1,1,1,1]
// GFX13: v_max3_u16 v5, exec_hi, null, vcc_lo op_sel:[1,1,1,1] ; encoding: [0x05,0x78,0x56,0xd7,0x7f,0xf8,0xa8,0x01]

v_max3_u16 v5, null, exec_lo, 0xfe0b op_sel:[0,0,0,0]
// GFX13: v_max3_u16 v5, null, exec_lo, 0xfe0b    ; encoding: [0x05,0x00,0x56,0xd7,0x7c,0xfc,0xfc,0x03,0x0b,0xfe,0x00,0x00]

v_max3_u16 v5, -1, exec_hi, src_scc op_sel:[1,0,0,0]
// GFX13: v_max3_u16 v5, -1, exec_hi, src_scc op_sel:[1,0,0,0] ; encoding: [0x05,0x08,0x56,0xd7,0xc1,0xfe,0xf4,0x03]

v_max3_u16 v5, 0.5, m0, 0.5 op_sel:[0,1,0,0]
// GFX13: v_max3_u16 v5, 0.5, m0, 0.5 op_sel:[0,1,0,0] ; encoding: [0x05,0x10,0x56,0xd7,0xf0,0xfa,0xc0,0x03]

v_max3_u16 v5, src_scc, vcc_lo, -1 op_sel:[0,0,1,0]
// GFX13: v_max3_u16 v5, src_scc, vcc_lo, -1 op_sel:[0,0,1,0] ; encoding: [0x05,0x20,0x56,0xd7,0xfd,0xd4,0x04,0x03]

v_max3_u16 v255, 0xfe0b, vcc_hi, null op_sel:[0,0,0,1]
// GFX13: v_max3_u16 v255, 0xfe0b, vcc_hi, null op_sel:[0,0,0,1] ; encoding: [0xff,0x40,0x56,0xd7,0xff,0xd6,0xf0,0x01,0x0b,0xfe,0x00,0x00]

v_max3_u32 v5, v1, v2, s3
// GFX13: v_max3_u32 v5, v1, v2, s3               ; encoding: [0x05,0x00,0x1e,0xd6,0x01,0x05,0x0e,0x00]

v_max3_u32 v5, v255, s2, s105
// GFX13: v_max3_u32 v5, v255, s2, s105           ; encoding: [0x05,0x00,0x1e,0xd6,0xff,0x05,0xa4,0x01]

v_max3_u32 v5, s1, v255, exec_hi
// GFX13: v_max3_u32 v5, s1, v255, exec_hi        ; encoding: [0x05,0x00,0x1e,0xd6,0x01,0xfe,0xff,0x01]

v_max3_u32 v5, s105, s105, exec_lo
// GFX13: v_max3_u32 v5, s105, s105, exec_lo      ; encoding: [0x05,0x00,0x1e,0xd6,0x69,0xd2,0xf8,0x01]

v_max3_u32 v5, vcc_lo, ttmp15, v3
// GFX13: v_max3_u32 v5, vcc_lo, ttmp15, v3       ; encoding: [0x05,0x00,0x1e,0xd6,0x6a,0xf6,0x0c,0x04]

v_max3_u32 v5, vcc_hi, 0xaf123456, v255
// GFX13: v_max3_u32 v5, vcc_hi, 0xaf123456, v255 ; encoding: [0x05,0x00,0x1e,0xd6,0x6b,0xfe,0xfd,0x07,0x56,0x34,0x12,0xaf]

v_max3_u32 v5, ttmp15, src_scc, ttmp15
// GFX13: v_max3_u32 v5, ttmp15, src_scc, ttmp15  ; encoding: [0x05,0x00,0x1e,0xd6,0x7b,0xfa,0xed,0x01]

v_max3_u32 v5, m0, 0.5, m0
// GFX13: v_max3_u32 v5, m0, 0.5, m0              ; encoding: [0x05,0x00,0x1e,0xd6,0x7d,0xe0,0xf5,0x01]

v_max3_u32 v5, exec_lo, -1, vcc_hi
// GFX13: v_max3_u32 v5, exec_lo, -1, vcc_hi      ; encoding: [0x05,0x00,0x1e,0xd6,0x7e,0x82,0xad,0x01]

v_max3_u32 v5, exec_hi, null, vcc_lo
// GFX13: v_max3_u32 v5, exec_hi, null, vcc_lo    ; encoding: [0x05,0x00,0x1e,0xd6,0x7f,0xf8,0xa8,0x01]

v_max3_u32 v5, null, exec_lo, 0xaf123456
// GFX13: v_max3_u32 v5, null, exec_lo, 0xaf123456 ; encoding: [0x05,0x00,0x1e,0xd6,0x7c,0xfc,0xfc,0x03,0x56,0x34,0x12,0xaf]

v_max3_u32 v5, -1, exec_hi, src_scc
// GFX13: v_max3_u32 v5, -1, exec_hi, src_scc     ; encoding: [0x05,0x00,0x1e,0xd6,0xc1,0xfe,0xf4,0x03]

v_max3_u32 v5, 0.5, m0, 0.5
// GFX13: v_max3_u32 v5, 0.5, m0, 0.5             ; encoding: [0x05,0x00,0x1e,0xd6,0xf0,0xfa,0xc0,0x03]

v_max3_u32 v5, src_scc, vcc_lo, -1
// GFX13: v_max3_u32 v5, src_scc, vcc_lo, -1      ; encoding: [0x05,0x00,0x1e,0xd6,0xfd,0xd4,0x04,0x03]

v_max3_u32 v255, 0xaf123456, vcc_hi, null
// GFX13: v_max3_u32 v255, 0xaf123456, vcc_hi, null ; encoding: [0xff,0x00,0x1e,0xd6,0xff,0xd6,0xf0,0x01,0x56,0x34,0x12,0xaf]

v_max_i16 v5, v1, v2
// GFX13: v_max_i16 v5, v1, v2                    ; encoding: [0x05,0x00,0x0a,0xd7,0x01,0x05,0x02,0x02]

v_max_i16 v5, v255, v255
// GFX13: v_max_i16 v5, v255, v255                ; encoding: [0x05,0x00,0x0a,0xd7,0xff,0xff,0x03,0x02]

v_max_i16 v5, s1, s2
// GFX13: v_max_i16 v5, s1, s2                    ; encoding: [0x05,0x00,0x0a,0xd7,0x01,0x04,0x00,0x02]

v_max_i16 v5, s105, s105
// GFX13: v_max_i16 v5, s105, s105                ; encoding: [0x05,0x00,0x0a,0xd7,0x69,0xd2,0x00,0x02]

v_max_i16 v5, vcc_lo, ttmp15
// GFX13: v_max_i16 v5, vcc_lo, ttmp15            ; encoding: [0x05,0x00,0x0a,0xd7,0x6a,0xf6,0x00,0x02]

v_max_i16 v5, vcc_hi, 0xfe0b
// GFX13: v_max_i16 v5, vcc_hi, 0xfe0b            ; encoding: [0x05,0x00,0x0a,0xd7,0x6b,0xfe,0x01,0x02,0x0b,0xfe,0x00,0x00]

v_max_i16 v5, ttmp15, src_scc
// GFX13: v_max_i16 v5, ttmp15, src_scc           ; encoding: [0x05,0x00,0x0a,0xd7,0x7b,0xfa,0x01,0x02]

v_max_i16 v5, m0, 0.5
// GFX13: v_max_i16 v5, m0, 0.5                   ; encoding: [0x05,0x00,0x0a,0xd7,0x7d,0xe0,0x01,0x02]

v_max_i16 v5, exec_lo, -1
// GFX13: v_max_i16 v5, exec_lo, -1               ; encoding: [0x05,0x00,0x0a,0xd7,0x7e,0x82,0x01,0x02]

v_max_i16 v5, exec_hi, null
// GFX13: v_max_i16 v5, exec_hi, null             ; encoding: [0x05,0x00,0x0a,0xd7,0x7f,0xf8,0x00,0x02]

v_max_i16 v5, null, exec_lo
// GFX13: v_max_i16 v5, null, exec_lo             ; encoding: [0x05,0x00,0x0a,0xd7,0x7c,0xfc,0x00,0x02]

v_max_i16 v5, -1, exec_hi
// GFX13: v_max_i16 v5, -1, exec_hi               ; encoding: [0x05,0x00,0x0a,0xd7,0xc1,0xfe,0x00,0x02]

v_max_i16 v5, 0.5, m0
// GFX13: v_max_i16 v5, 0.5, m0                   ; encoding: [0x05,0x00,0x0a,0xd7,0xf0,0xfa,0x00,0x02]

v_max_i16 v5, src_scc, vcc_lo
// GFX13: v_max_i16 v5, src_scc, vcc_lo           ; encoding: [0x05,0x00,0x0a,0xd7,0xfd,0xd4,0x00,0x02]

v_max_i16 v255, 0xfe0b, vcc_hi
// GFX13: v_max_i16 v255, 0xfe0b, vcc_hi          ; encoding: [0xff,0x00,0x0a,0xd7,0xff,0xd6,0x00,0x02,0x0b,0xfe,0x00,0x00]

v_max_u16 v5, v1, v2
// GFX13: v_max_u16 v5, v1, v2                    ; encoding: [0x05,0x00,0x09,0xd7,0x01,0x05,0x02,0x02]

v_max_u16 v5, v255, v255
// GFX13: v_max_u16 v5, v255, v255                ; encoding: [0x05,0x00,0x09,0xd7,0xff,0xff,0x03,0x02]

v_max_u16 v5, s1, s2
// GFX13: v_max_u16 v5, s1, s2                    ; encoding: [0x05,0x00,0x09,0xd7,0x01,0x04,0x00,0x02]

v_max_u16 v5, s105, s105
// GFX13: v_max_u16 v5, s105, s105                ; encoding: [0x05,0x00,0x09,0xd7,0x69,0xd2,0x00,0x02]

v_max_u16 v5, vcc_lo, ttmp15
// GFX13: v_max_u16 v5, vcc_lo, ttmp15            ; encoding: [0x05,0x00,0x09,0xd7,0x6a,0xf6,0x00,0x02]

v_max_u16 v5, vcc_hi, 0xfe0b
// GFX13: v_max_u16 v5, vcc_hi, 0xfe0b            ; encoding: [0x05,0x00,0x09,0xd7,0x6b,0xfe,0x01,0x02,0x0b,0xfe,0x00,0x00]

v_max_u16 v5, ttmp15, src_scc
// GFX13: v_max_u16 v5, ttmp15, src_scc           ; encoding: [0x05,0x00,0x09,0xd7,0x7b,0xfa,0x01,0x02]

v_max_u16 v5, m0, 0.5
// GFX13: v_max_u16 v5, m0, 0.5                   ; encoding: [0x05,0x00,0x09,0xd7,0x7d,0xe0,0x01,0x02]

v_max_u16 v5, exec_lo, -1
// GFX13: v_max_u16 v5, exec_lo, -1               ; encoding: [0x05,0x00,0x09,0xd7,0x7e,0x82,0x01,0x02]

v_max_u16 v5, exec_hi, null
// GFX13: v_max_u16 v5, exec_hi, null             ; encoding: [0x05,0x00,0x09,0xd7,0x7f,0xf8,0x00,0x02]

v_max_u16 v5, null, exec_lo
// GFX13: v_max_u16 v5, null, exec_lo             ; encoding: [0x05,0x00,0x09,0xd7,0x7c,0xfc,0x00,0x02]

v_max_u16 v5, -1, exec_hi
// GFX13: v_max_u16 v5, -1, exec_hi               ; encoding: [0x05,0x00,0x09,0xd7,0xc1,0xfe,0x00,0x02]

v_max_u16 v5, 0.5, m0
// GFX13: v_max_u16 v5, 0.5, m0                   ; encoding: [0x05,0x00,0x09,0xd7,0xf0,0xfa,0x00,0x02]

v_max_u16 v5, src_scc, vcc_lo
// GFX13: v_max_u16 v5, src_scc, vcc_lo           ; encoding: [0x05,0x00,0x09,0xd7,0xfd,0xd4,0x00,0x02]

v_max_u16 v255, 0xfe0b, vcc_hi
// GFX13: v_max_u16 v255, 0xfe0b, vcc_hi          ; encoding: [0xff,0x00,0x09,0xd7,0xff,0xd6,0x00,0x02,0x0b,0xfe,0x00,0x00]

v_maxmin_num_f16 v5, v1, v2, s3
// GFX13: v_maxmin_num_f16 v5, v1, v2, s3         ; encoding: [0x05,0x00,0x6b,0xd6,0x01,0x05,0x0e,0x00]

v_maxmin_num_f16 v5, v255, s2, s105
// GFX13: v_maxmin_num_f16 v5, v255, s2, s105     ; encoding: [0x05,0x00,0x6b,0xd6,0xff,0x05,0xa4,0x01]

v_maxmin_num_f16 v5, s1, v255, exec_hi
// GFX13: v_maxmin_num_f16 v5, s1, v255, exec_hi  ; encoding: [0x05,0x00,0x6b,0xd6,0x01,0xfe,0xff,0x01]

v_maxmin_num_f16 v5, s105, s105, exec_lo
// GFX13: v_maxmin_num_f16 v5, s105, s105, exec_lo ; encoding: [0x05,0x00,0x6b,0xd6,0x69,0xd2,0xf8,0x01]

v_maxmin_num_f16 v5, vcc_lo, ttmp15, v3
// GFX13: v_maxmin_num_f16 v5, vcc_lo, ttmp15, v3 ; encoding: [0x05,0x00,0x6b,0xd6,0x6a,0xf6,0x0c,0x04]

v_maxmin_num_f16 v5, vcc_hi, 0xfe0b, v255
// GFX13: v_maxmin_num_f16 v5, vcc_hi, 0xfe0b, v255 ; encoding: [0x05,0x00,0x6b,0xd6,0x6b,0xfe,0xfd,0x07,0x0b,0xfe,0x00,0x00]

v_maxmin_num_f16 v5, -|ttmp15|, -|src_scc|, -|ttmp15|
// GFX13: v_maxmin_num_f16 v5, -|ttmp15|, -|src_scc|, -|ttmp15| ; encoding: [0x05,0x07,0x6b,0xd6,0x7b,0xfa,0xed,0xe1]

v_maxmin_num_f16 v5, m0, 0.5, m0
// GFX13: v_maxmin_num_f16 v5, m0, 0.5, m0        ; encoding: [0x05,0x00,0x6b,0xd6,0x7d,0xe0,0xf5,0x01]

v_maxmin_num_f16 v5, |exec_lo|, -1, vcc_hi
// GFX13: v_maxmin_num_f16 v5, |exec_lo|, -1, vcc_hi ; encoding: [0x05,0x01,0x6b,0xd6,0x7e,0x82,0xad,0x01]

v_maxmin_num_f16 v5, -|exec_hi|, null, -|vcc_lo|
// GFX13: v_maxmin_num_f16 v5, -|exec_hi|, null, -|vcc_lo| ; encoding: [0x05,0x05,0x6b,0xd6,0x7f,0xf8,0xa8,0xa1]

v_maxmin_num_f16 v5, null, exec_lo, -|0xfe0b|
// GFX13: v_maxmin_num_f16 v5, null, exec_lo, -|0xfe0b| ; encoding: [0x05,0x04,0x6b,0xd6,0x7c,0xfc,0xfc,0x83,0x0b,0xfe,0x00,0x00]

v_maxmin_num_f16 v5, -1, -|exec_hi|, -|src_scc|
// GFX13: v_maxmin_num_f16 v5, -1, -|exec_hi|, -|src_scc| ; encoding: [0x05,0x06,0x6b,0xd6,0xc1,0xfe,0xf4,0xc3]

v_maxmin_num_f16 v5, 0.5, -m0, 0.5 mul:2
// GFX13: v_maxmin_num_f16 v5, 0.5, -m0, 0.5 mul:2 ; encoding: [0x05,0x00,0x6b,0xd6,0xf0,0xfa,0xc0,0x4b]

v_maxmin_num_f16 v5, -src_scc, |vcc_lo|, -1 mul:4
// GFX13: v_maxmin_num_f16 v5, -src_scc, |vcc_lo|, -1 mul:4 ; encoding: [0x05,0x02,0x6b,0xd6,0xfd,0xd4,0x04,0x33]

v_maxmin_num_f16 v255, -|0xfe0b|, -|vcc_hi|, null clamp div:2
// GFX13: v_maxmin_num_f16 v255, -|0xfe0b|, -|vcc_hi|, null clamp div:2 ; encoding: [0xff,0x83,0x6b,0xd6,0xff,0xd6,0xf0,0x79,0x0b,0xfe,0x00,0x00]

v_maxmin_num_f32 v5, v1, v2, s3
// GFX13: v_maxmin_num_f32 v5, v1, v2, s3         ; encoding: [0x05,0x00,0x69,0xd6,0x01,0x05,0x0e,0x00]

v_maxmin_num_f32 v5, v255, s2, s105
// GFX13: v_maxmin_num_f32 v5, v255, s2, s105     ; encoding: [0x05,0x00,0x69,0xd6,0xff,0x05,0xa4,0x01]

v_maxmin_num_f32 v5, s1, v255, exec_hi
// GFX13: v_maxmin_num_f32 v5, s1, v255, exec_hi  ; encoding: [0x05,0x00,0x69,0xd6,0x01,0xfe,0xff,0x01]

v_maxmin_num_f32 v5, s105, s105, exec_lo
// GFX13: v_maxmin_num_f32 v5, s105, s105, exec_lo ; encoding: [0x05,0x00,0x69,0xd6,0x69,0xd2,0xf8,0x01]

v_maxmin_num_f32 v5, vcc_lo, ttmp15, v3
// GFX13: v_maxmin_num_f32 v5, vcc_lo, ttmp15, v3 ; encoding: [0x05,0x00,0x69,0xd6,0x6a,0xf6,0x0c,0x04]

v_maxmin_num_f32 v5, vcc_hi, 0xaf123456, v255
// GFX13: v_maxmin_num_f32 v5, vcc_hi, 0xaf123456, v255 ; encoding: [0x05,0x00,0x69,0xd6,0x6b,0xfe,0xfd,0x07,0x56,0x34,0x12,0xaf]

v_maxmin_num_f32 v5, -|ttmp15|, -|src_scc|, -|ttmp15|
// GFX13: v_maxmin_num_f32 v5, -|ttmp15|, -|src_scc|, -|ttmp15| ; encoding: [0x05,0x07,0x69,0xd6,0x7b,0xfa,0xed,0xe1]

v_maxmin_num_f32 v5, m0, 0.5, m0
// GFX13: v_maxmin_num_f32 v5, m0, 0.5, m0        ; encoding: [0x05,0x00,0x69,0xd6,0x7d,0xe0,0xf5,0x01]

v_maxmin_num_f32 v5, |exec_lo|, -1, vcc_hi
// GFX13: v_maxmin_num_f32 v5, |exec_lo|, -1, vcc_hi ; encoding: [0x05,0x01,0x69,0xd6,0x7e,0x82,0xad,0x01]

v_maxmin_num_f32 v5, -|exec_hi|, null, -|vcc_lo|
// GFX13: v_maxmin_num_f32 v5, -|exec_hi|, null, -|vcc_lo| ; encoding: [0x05,0x05,0x69,0xd6,0x7f,0xf8,0xa8,0xa1]

v_maxmin_num_f32 v5, null, exec_lo, -|0xaf123456|
// GFX13: v_maxmin_num_f32 v5, null, exec_lo, -|0xaf123456| ; encoding: [0x05,0x04,0x69,0xd6,0x7c,0xfc,0xfc,0x83,0x56,0x34,0x12,0xaf]

v_maxmin_num_f32 v5, -1, -|exec_hi|, -|src_scc|
// GFX13: v_maxmin_num_f32 v5, -1, -|exec_hi|, -|src_scc| ; encoding: [0x05,0x06,0x69,0xd6,0xc1,0xfe,0xf4,0xc3]

v_maxmin_num_f32 v5, 0.5, -m0, 0.5 mul:2
// GFX13: v_maxmin_num_f32 v5, 0.5, -m0, 0.5 mul:2 ; encoding: [0x05,0x00,0x69,0xd6,0xf0,0xfa,0xc0,0x4b]

v_maxmin_num_f32 v5, -src_scc, |vcc_lo|, -1 mul:4
// GFX13: v_maxmin_num_f32 v5, -src_scc, |vcc_lo|, -1 mul:4 ; encoding: [0x05,0x02,0x69,0xd6,0xfd,0xd4,0x04,0x33]

v_maxmin_num_f32 v255, -|0xaf123456|, -|vcc_hi|, null clamp div:2
// GFX13: v_maxmin_num_f32 v255, -|0xaf123456|, -|vcc_hi|, null clamp div:2 ; encoding: [0xff,0x83,0x69,0xd6,0xff,0xd6,0xf0,0x79,0x56,0x34,0x12,0xaf]

v_maxmin_i32 v5, v1, v2, s3
// GFX13: v_maxmin_i32 v5, v1, v2, s3             ; encoding: [0x05,0x00,0x64,0xd6,0x01,0x05,0x0e,0x00]

v_maxmin_i32 v5, v255, s2, s105
// GFX13: v_maxmin_i32 v5, v255, s2, s105         ; encoding: [0x05,0x00,0x64,0xd6,0xff,0x05,0xa4,0x01]

v_maxmin_i32 v5, s1, v255, exec_hi
// GFX13: v_maxmin_i32 v5, s1, v255, exec_hi      ; encoding: [0x05,0x00,0x64,0xd6,0x01,0xfe,0xff,0x01]

v_maxmin_i32 v5, s105, s105, exec_lo
// GFX13: v_maxmin_i32 v5, s105, s105, exec_lo    ; encoding: [0x05,0x00,0x64,0xd6,0x69,0xd2,0xf8,0x01]

v_maxmin_i32 v5, vcc_lo, ttmp15, v3
// GFX13: v_maxmin_i32 v5, vcc_lo, ttmp15, v3     ; encoding: [0x05,0x00,0x64,0xd6,0x6a,0xf6,0x0c,0x04]

v_maxmin_i32 v5, vcc_hi, 0xaf123456, v255
// GFX13: v_maxmin_i32 v5, vcc_hi, 0xaf123456, v255 ; encoding: [0x05,0x00,0x64,0xd6,0x6b,0xfe,0xfd,0x07,0x56,0x34,0x12,0xaf]

v_maxmin_i32 v5, ttmp15, src_scc, ttmp15
// GFX13: v_maxmin_i32 v5, ttmp15, src_scc, ttmp15 ; encoding: [0x05,0x00,0x64,0xd6,0x7b,0xfa,0xed,0x01]

v_maxmin_i32 v5, m0, 0.5, m0
// GFX13: v_maxmin_i32 v5, m0, 0.5, m0            ; encoding: [0x05,0x00,0x64,0xd6,0x7d,0xe0,0xf5,0x01]

v_maxmin_i32 v5, exec_lo, -1, vcc_hi
// GFX13: v_maxmin_i32 v5, exec_lo, -1, vcc_hi    ; encoding: [0x05,0x00,0x64,0xd6,0x7e,0x82,0xad,0x01]

v_maxmin_i32 v5, exec_hi, null, vcc_lo
// GFX13: v_maxmin_i32 v5, exec_hi, null, vcc_lo  ; encoding: [0x05,0x00,0x64,0xd6,0x7f,0xf8,0xa8,0x01]

v_maxmin_i32 v5, null, exec_lo, 0xaf123456
// GFX13: v_maxmin_i32 v5, null, exec_lo, 0xaf123456 ; encoding: [0x05,0x00,0x64,0xd6,0x7c,0xfc,0xfc,0x03,0x56,0x34,0x12,0xaf]

v_maxmin_i32 v5, -1, exec_hi, src_scc
// GFX13: v_maxmin_i32 v5, -1, exec_hi, src_scc   ; encoding: [0x05,0x00,0x64,0xd6,0xc1,0xfe,0xf4,0x03]

v_maxmin_i32 v5, 0.5, m0, 0.5
// GFX13: v_maxmin_i32 v5, 0.5, m0, 0.5           ; encoding: [0x05,0x00,0x64,0xd6,0xf0,0xfa,0xc0,0x03]

v_maxmin_i32 v5, src_scc, vcc_lo, -1
// GFX13: v_maxmin_i32 v5, src_scc, vcc_lo, -1    ; encoding: [0x05,0x00,0x64,0xd6,0xfd,0xd4,0x04,0x03]

v_maxmin_i32 v255, 0xaf123456, vcc_hi, null
// GFX13: v_maxmin_i32 v255, 0xaf123456, vcc_hi, null ; encoding: [0xff,0x00,0x64,0xd6,0xff,0xd6,0xf0,0x01,0x56,0x34,0x12,0xaf]

v_maxmin_u32 v5, v1, v2, s3
// GFX13: v_maxmin_u32 v5, v1, v2, s3             ; encoding: [0x05,0x00,0x62,0xd6,0x01,0x05,0x0e,0x00]

v_maxmin_u32 v5, v255, s2, s105
// GFX13: v_maxmin_u32 v5, v255, s2, s105         ; encoding: [0x05,0x00,0x62,0xd6,0xff,0x05,0xa4,0x01]

v_maxmin_u32 v5, s1, v255, exec_hi
// GFX13: v_maxmin_u32 v5, s1, v255, exec_hi      ; encoding: [0x05,0x00,0x62,0xd6,0x01,0xfe,0xff,0x01]

v_maxmin_u32 v5, s105, s105, exec_lo
// GFX13: v_maxmin_u32 v5, s105, s105, exec_lo    ; encoding: [0x05,0x00,0x62,0xd6,0x69,0xd2,0xf8,0x01]

v_maxmin_u32 v5, vcc_lo, ttmp15, v3
// GFX13: v_maxmin_u32 v5, vcc_lo, ttmp15, v3     ; encoding: [0x05,0x00,0x62,0xd6,0x6a,0xf6,0x0c,0x04]

v_maxmin_u32 v5, vcc_hi, 0xaf123456, v255
// GFX13: v_maxmin_u32 v5, vcc_hi, 0xaf123456, v255 ; encoding: [0x05,0x00,0x62,0xd6,0x6b,0xfe,0xfd,0x07,0x56,0x34,0x12,0xaf]

v_maxmin_u32 v5, ttmp15, src_scc, ttmp15
// GFX13: v_maxmin_u32 v5, ttmp15, src_scc, ttmp15 ; encoding: [0x05,0x00,0x62,0xd6,0x7b,0xfa,0xed,0x01]

v_maxmin_u32 v5, m0, 0.5, m0
// GFX13: v_maxmin_u32 v5, m0, 0.5, m0            ; encoding: [0x05,0x00,0x62,0xd6,0x7d,0xe0,0xf5,0x01]

v_maxmin_u32 v5, exec_lo, -1, vcc_hi
// GFX13: v_maxmin_u32 v5, exec_lo, -1, vcc_hi    ; encoding: [0x05,0x00,0x62,0xd6,0x7e,0x82,0xad,0x01]

v_maxmin_u32 v5, exec_hi, null, vcc_lo
// GFX13: v_maxmin_u32 v5, exec_hi, null, vcc_lo  ; encoding: [0x05,0x00,0x62,0xd6,0x7f,0xf8,0xa8,0x01]

v_maxmin_u32 v5, null, exec_lo, 0xaf123456
// GFX13: v_maxmin_u32 v5, null, exec_lo, 0xaf123456 ; encoding: [0x05,0x00,0x62,0xd6,0x7c,0xfc,0xfc,0x03,0x56,0x34,0x12,0xaf]

v_maxmin_u32 v5, -1, exec_hi, src_scc
// GFX13: v_maxmin_u32 v5, -1, exec_hi, src_scc   ; encoding: [0x05,0x00,0x62,0xd6,0xc1,0xfe,0xf4,0x03]

v_maxmin_u32 v5, 0.5, m0, 0.5
// GFX13: v_maxmin_u32 v5, 0.5, m0, 0.5           ; encoding: [0x05,0x00,0x62,0xd6,0xf0,0xfa,0xc0,0x03]

v_maxmin_u32 v5, src_scc, vcc_lo, -1
// GFX13: v_maxmin_u32 v5, src_scc, vcc_lo, -1    ; encoding: [0x05,0x00,0x62,0xd6,0xfd,0xd4,0x04,0x03]

v_maxmin_u32 v255, 0xaf123456, vcc_hi, null
// GFX13: v_maxmin_u32 v255, 0xaf123456, vcc_hi, null ; encoding: [0xff,0x00,0x62,0xd6,0xff,0xd6,0xf0,0x01,0x56,0x34,0x12,0xaf]

v_mbcnt_hi_u32_b32 v5, v1, v2
// GFX13: v_mbcnt_hi_u32_b32 v5, v1, v2           ; encoding: [0x05,0x00,0x66,0xd7,0x01,0x05,0x02,0x02]

v_mbcnt_hi_u32_b32 v5, v255, v255
// GFX13: v_mbcnt_hi_u32_b32 v5, v255, v255       ; encoding: [0x05,0x00,0x66,0xd7,0xff,0xff,0x03,0x02]

v_mbcnt_hi_u32_b32 v5, s1, s2
// GFX13: v_mbcnt_hi_u32_b32 v5, s1, s2           ; encoding: [0x05,0x00,0x66,0xd7,0x01,0x04,0x00,0x02]

v_mbcnt_hi_u32_b32 v5, s105, s105
// GFX13: v_mbcnt_hi_u32_b32 v5, s105, s105       ; encoding: [0x05,0x00,0x66,0xd7,0x69,0xd2,0x00,0x02]

v_mbcnt_hi_u32_b32 v5, vcc_lo, ttmp15
// GFX13: v_mbcnt_hi_u32_b32 v5, vcc_lo, ttmp15   ; encoding: [0x05,0x00,0x66,0xd7,0x6a,0xf6,0x00,0x02]

v_mbcnt_hi_u32_b32 v5, vcc_hi, 0xaf123456
// GFX13: v_mbcnt_hi_u32_b32 v5, vcc_hi, 0xaf123456 ; encoding: [0x05,0x00,0x66,0xd7,0x6b,0xfe,0x01,0x02,0x56,0x34,0x12,0xaf]

v_mbcnt_hi_u32_b32 v5, ttmp15, src_scc
// GFX13: v_mbcnt_hi_u32_b32 v5, ttmp15, src_scc  ; encoding: [0x05,0x00,0x66,0xd7,0x7b,0xfa,0x01,0x02]

v_mbcnt_hi_u32_b32 v5, m0, 0.5
// GFX13: v_mbcnt_hi_u32_b32 v5, m0, 0.5          ; encoding: [0x05,0x00,0x66,0xd7,0x7d,0xe0,0x01,0x02]

v_mbcnt_hi_u32_b32 v5, exec_lo, -1
// GFX13: v_mbcnt_hi_u32_b32 v5, exec_lo, -1      ; encoding: [0x05,0x00,0x66,0xd7,0x7e,0x82,0x01,0x02]

v_mbcnt_hi_u32_b32 v5, exec_hi, null
// GFX13: v_mbcnt_hi_u32_b32 v5, exec_hi, null    ; encoding: [0x05,0x00,0x66,0xd7,0x7f,0xf8,0x00,0x02]

v_mbcnt_hi_u32_b32 v5, null, exec_lo
// GFX13: v_mbcnt_hi_u32_b32 v5, null, exec_lo    ; encoding: [0x05,0x00,0x66,0xd7,0x7c,0xfc,0x00,0x02]

v_mbcnt_hi_u32_b32 v5, -1, exec_hi
// GFX13: v_mbcnt_hi_u32_b32 v5, -1, exec_hi      ; encoding: [0x05,0x00,0x66,0xd7,0xc1,0xfe,0x00,0x02]

v_mbcnt_hi_u32_b32 v5, 0.5, m0
// GFX13: v_mbcnt_hi_u32_b32 v5, 0.5, m0          ; encoding: [0x05,0x00,0x66,0xd7,0xf0,0xfa,0x00,0x02]

v_mbcnt_hi_u32_b32 v5, src_scc, vcc_lo
// GFX13: v_mbcnt_hi_u32_b32 v5, src_scc, vcc_lo  ; encoding: [0x05,0x00,0x66,0xd7,0xfd,0xd4,0x00,0x02]

v_mbcnt_hi_u32_b32 v255, 0xaf123456, vcc_hi
// GFX13: v_mbcnt_hi_u32_b32 v255, 0xaf123456, vcc_hi ; encoding: [0xff,0x00,0x66,0xd7,0xff,0xd6,0x00,0x02,0x56,0x34,0x12,0xaf]

v_mbcnt_lo_u32_b32 v5, v1, v2
// GFX13: v_mbcnt_lo_u32_b32 v5, v1, v2           ; encoding: [0x05,0x00,0x65,0xd7,0x01,0x05,0x02,0x02]

v_mbcnt_lo_u32_b32 v5, v255, v255
// GFX13: v_mbcnt_lo_u32_b32 v5, v255, v255       ; encoding: [0x05,0x00,0x65,0xd7,0xff,0xff,0x03,0x02]

v_mbcnt_lo_u32_b32 v5, s1, s2
// GFX13: v_mbcnt_lo_u32_b32 v5, s1, s2           ; encoding: [0x05,0x00,0x65,0xd7,0x01,0x04,0x00,0x02]

v_mbcnt_lo_u32_b32 v5, s105, s105
// GFX13: v_mbcnt_lo_u32_b32 v5, s105, s105       ; encoding: [0x05,0x00,0x65,0xd7,0x69,0xd2,0x00,0x02]

v_mbcnt_lo_u32_b32 v5, vcc_lo, ttmp15
// GFX13: v_mbcnt_lo_u32_b32 v5, vcc_lo, ttmp15   ; encoding: [0x05,0x00,0x65,0xd7,0x6a,0xf6,0x00,0x02]

v_mbcnt_lo_u32_b32 v5, vcc_hi, 0xaf123456
// GFX13: v_mbcnt_lo_u32_b32 v5, vcc_hi, 0xaf123456 ; encoding: [0x05,0x00,0x65,0xd7,0x6b,0xfe,0x01,0x02,0x56,0x34,0x12,0xaf]

v_mbcnt_lo_u32_b32 v5, ttmp15, src_scc
// GFX13: v_mbcnt_lo_u32_b32 v5, ttmp15, src_scc  ; encoding: [0x05,0x00,0x65,0xd7,0x7b,0xfa,0x01,0x02]

v_mbcnt_lo_u32_b32 v5, m0, 0.5
// GFX13: v_mbcnt_lo_u32_b32 v5, m0, 0.5          ; encoding: [0x05,0x00,0x65,0xd7,0x7d,0xe0,0x01,0x02]

v_mbcnt_lo_u32_b32 v5, exec_lo, -1
// GFX13: v_mbcnt_lo_u32_b32 v5, exec_lo, -1      ; encoding: [0x05,0x00,0x65,0xd7,0x7e,0x82,0x01,0x02]

v_mbcnt_lo_u32_b32 v5, exec_hi, null
// GFX13: v_mbcnt_lo_u32_b32 v5, exec_hi, null    ; encoding: [0x05,0x00,0x65,0xd7,0x7f,0xf8,0x00,0x02]

v_mbcnt_lo_u32_b32 v5, null, exec_lo
// GFX13: v_mbcnt_lo_u32_b32 v5, null, exec_lo    ; encoding: [0x05,0x00,0x65,0xd7,0x7c,0xfc,0x00,0x02]

v_mbcnt_lo_u32_b32 v5, -1, exec_hi
// GFX13: v_mbcnt_lo_u32_b32 v5, -1, exec_hi      ; encoding: [0x05,0x00,0x65,0xd7,0xc1,0xfe,0x00,0x02]

v_mbcnt_lo_u32_b32 v5, 0.5, m0
// GFX13: v_mbcnt_lo_u32_b32 v5, 0.5, m0          ; encoding: [0x05,0x00,0x65,0xd7,0xf0,0xfa,0x00,0x02]

v_mbcnt_lo_u32_b32 v5, src_scc, vcc_lo
// GFX13: v_mbcnt_lo_u32_b32 v5, src_scc, vcc_lo  ; encoding: [0x05,0x00,0x65,0xd7,0xfd,0xd4,0x00,0x02]

v_mbcnt_lo_u32_b32 v255, 0xaf123456, vcc_hi
// GFX13: v_mbcnt_lo_u32_b32 v255, 0xaf123456, vcc_hi ; encoding: [0xff,0x00,0x65,0xd7,0xff,0xd6,0x00,0x02,0x56,0x34,0x12,0xaf]

v_med3_num_f16 v5, v1, v2, s3
// GFX13: v_med3_num_f16 v5, v1, v2, s3           ; encoding: [0x05,0x00,0x57,0xd7,0x01,0x05,0x0e,0x00]

v_med3_num_f16 v5, v255, s2, s105
// GFX13: v_med3_num_f16 v5, v255, s2, s105       ; encoding: [0x05,0x00,0x57,0xd7,0xff,0x05,0xa4,0x01]

v_med3_num_f16 v5, s1, v255, exec_hi
// GFX13: v_med3_num_f16 v5, s1, v255, exec_hi    ; encoding: [0x05,0x00,0x57,0xd7,0x01,0xfe,0xff,0x01]

v_med3_num_f16 v5, s105, s105, exec_lo
// GFX13: v_med3_num_f16 v5, s105, s105, exec_lo  ; encoding: [0x05,0x00,0x57,0xd7,0x69,0xd2,0xf8,0x01]

v_med3_num_f16 v5, vcc_lo, ttmp15, v3
// GFX13: v_med3_num_f16 v5, vcc_lo, ttmp15, v3   ; encoding: [0x05,0x00,0x57,0xd7,0x6a,0xf6,0x0c,0x04]

v_med3_num_f16 v5, vcc_hi, 0xfe0b, v255
// GFX13: v_med3_num_f16 v5, vcc_hi, 0xfe0b, v255 ; encoding: [0x05,0x00,0x57,0xd7,0x6b,0xfe,0xfd,0x07,0x0b,0xfe,0x00,0x00]

v_med3_num_f16 v5, -|ttmp15|, -|src_scc|, -|ttmp15|
// GFX13: v_med3_num_f16 v5, -|ttmp15|, -|src_scc|, -|ttmp15| ; encoding: [0x05,0x07,0x57,0xd7,0x7b,0xfa,0xed,0xe1]

v_med3_num_f16 v5, m0, 0.5, m0
// GFX13: v_med3_num_f16 v5, m0, 0.5, m0          ; encoding: [0x05,0x00,0x57,0xd7,0x7d,0xe0,0xf5,0x01]

v_med3_num_f16 v5, |exec_lo|, -1, vcc_hi
// GFX13: v_med3_num_f16 v5, |exec_lo|, -1, vcc_hi ; encoding: [0x05,0x01,0x57,0xd7,0x7e,0x82,0xad,0x01]

v_med3_num_f16 v5, -|exec_hi|, null, -|vcc_lo| op_sel:[1,1,1,1]
// GFX13: v_med3_num_f16 v5, -|exec_hi|, null, -|vcc_lo| op_sel:[1,1,1,1] ; encoding: [0x05,0x7d,0x57,0xd7,0x7f,0xf8,0xa8,0xa1]

v_med3_num_f16 v5, null, exec_lo, -|0xfe0b| op_sel:[0,0,0,0]
// GFX13: v_med3_num_f16 v5, null, exec_lo, -|0xfe0b| ; encoding: [0x05,0x04,0x57,0xd7,0x7c,0xfc,0xfc,0x83,0x0b,0xfe,0x00,0x00]

v_med3_num_f16 v5, -1, -|exec_hi|, -|src_scc| op_sel:[1,0,0,0]
// GFX13: v_med3_num_f16 v5, -1, -|exec_hi|, -|src_scc| op_sel:[1,0,0,0] ; encoding: [0x05,0x0e,0x57,0xd7,0xc1,0xfe,0xf4,0xc3]

v_med3_num_f16 v5, 0.5, -m0, 0.5 op_sel:[0,1,0,0]
// GFX13: v_med3_num_f16 v5, 0.5, -m0, 0.5 op_sel:[0,1,0,0] ; encoding: [0x05,0x10,0x57,0xd7,0xf0,0xfa,0xc0,0x43]

v_med3_num_f16 v5, -src_scc, |vcc_lo|, -1 op_sel:[0,0,1,0]
// GFX13: v_med3_num_f16 v5, -src_scc, |vcc_lo|, -1 op_sel:[0,0,1,0] ; encoding: [0x05,0x22,0x57,0xd7,0xfd,0xd4,0x04,0x23]

v_med3_num_f16 v255, -|0xfe0b|, -|vcc_hi|, null op_sel:[0,0,0,1] clamp
// GFX13: v_med3_num_f16 v255, -|0xfe0b|, -|vcc_hi|, null op_sel:[0,0,0,1] clamp ; encoding: [0xff,0xc3,0x57,0xd7,0xff,0xd6,0xf0,0x61,0x0b,0xfe,0x00,0x00]

v_med3_num_f32 v5, v1, v2, s3
// GFX13: v_med3_num_f32 v5, v1, v2, s3           ; encoding: [0x05,0x00,0x31,0xd6,0x01,0x05,0x0e,0x00]

v_med3_num_f32 v5, v255, s2, s105
// GFX13: v_med3_num_f32 v5, v255, s2, s105       ; encoding: [0x05,0x00,0x31,0xd6,0xff,0x05,0xa4,0x01]

v_med3_num_f32 v5, s1, v255, exec_hi
// GFX13: v_med3_num_f32 v5, s1, v255, exec_hi    ; encoding: [0x05,0x00,0x31,0xd6,0x01,0xfe,0xff,0x01]

v_med3_num_f32 v5, s105, s105, exec_lo
// GFX13: v_med3_num_f32 v5, s105, s105, exec_lo  ; encoding: [0x05,0x00,0x31,0xd6,0x69,0xd2,0xf8,0x01]

v_med3_num_f32 v5, vcc_lo, ttmp15, v3
// GFX13: v_med3_num_f32 v5, vcc_lo, ttmp15, v3   ; encoding: [0x05,0x00,0x31,0xd6,0x6a,0xf6,0x0c,0x04]

v_med3_num_f32 v5, vcc_hi, 0xaf123456, v255
// GFX13: v_med3_num_f32 v5, vcc_hi, 0xaf123456, v255 ; encoding: [0x05,0x00,0x31,0xd6,0x6b,0xfe,0xfd,0x07,0x56,0x34,0x12,0xaf]

v_med3_num_f32 v5, -|ttmp15|, -|src_scc|, -|ttmp15|
// GFX13: v_med3_num_f32 v5, -|ttmp15|, -|src_scc|, -|ttmp15| ; encoding: [0x05,0x07,0x31,0xd6,0x7b,0xfa,0xed,0xe1]

v_med3_num_f32 v5, m0, 0.5, m0
// GFX13: v_med3_num_f32 v5, m0, 0.5, m0          ; encoding: [0x05,0x00,0x31,0xd6,0x7d,0xe0,0xf5,0x01]

v_med3_num_f32 v5, |exec_lo|, -1, vcc_hi
// GFX13: v_med3_num_f32 v5, |exec_lo|, -1, vcc_hi ; encoding: [0x05,0x01,0x31,0xd6,0x7e,0x82,0xad,0x01]

v_med3_num_f32 v5, -|exec_hi|, null, -|vcc_lo|
// GFX13: v_med3_num_f32 v5, -|exec_hi|, null, -|vcc_lo| ; encoding: [0x05,0x05,0x31,0xd6,0x7f,0xf8,0xa8,0xa1]

v_med3_num_f32 v5, null, exec_lo, -|0xaf123456|
// GFX13: v_med3_num_f32 v5, null, exec_lo, -|0xaf123456| ; encoding: [0x05,0x04,0x31,0xd6,0x7c,0xfc,0xfc,0x83,0x56,0x34,0x12,0xaf]

v_med3_num_f32 v5, -1, -|exec_hi|, -|src_scc|
// GFX13: v_med3_num_f32 v5, -1, -|exec_hi|, -|src_scc| ; encoding: [0x05,0x06,0x31,0xd6,0xc1,0xfe,0xf4,0xc3]

v_med3_num_f32 v5, 0.5, -m0, 0.5 mul:2
// GFX13: v_med3_num_f32 v5, 0.5, -m0, 0.5 mul:2  ; encoding: [0x05,0x00,0x31,0xd6,0xf0,0xfa,0xc0,0x4b]

v_med3_num_f32 v5, -src_scc, |vcc_lo|, -1 mul:4
// GFX13: v_med3_num_f32 v5, -src_scc, |vcc_lo|, -1 mul:4 ; encoding: [0x05,0x02,0x31,0xd6,0xfd,0xd4,0x04,0x33]

v_med3_num_f32 v255, -|0xaf123456|, -|vcc_hi|, null clamp div:2
// GFX13: v_med3_num_f32 v255, -|0xaf123456|, -|vcc_hi|, null clamp div:2 ; encoding: [0xff,0x83,0x31,0xd6,0xff,0xd6,0xf0,0x79,0x56,0x34,0x12,0xaf]

v_med3_i16 v5, v1, v2, s3
// GFX13: v_med3_i16 v5, v1, v2, s3               ; encoding: [0x05,0x00,0x58,0xd7,0x01,0x05,0x0e,0x00]

v_med3_i16 v5, v255, s2, s105
// GFX13: v_med3_i16 v5, v255, s2, s105           ; encoding: [0x05,0x00,0x58,0xd7,0xff,0x05,0xa4,0x01]

v_med3_i16 v5, s1, v255, exec_hi
// GFX13: v_med3_i16 v5, s1, v255, exec_hi        ; encoding: [0x05,0x00,0x58,0xd7,0x01,0xfe,0xff,0x01]

v_med3_i16 v5, s105, s105, exec_lo
// GFX13: v_med3_i16 v5, s105, s105, exec_lo      ; encoding: [0x05,0x00,0x58,0xd7,0x69,0xd2,0xf8,0x01]

v_med3_i16 v5, vcc_lo, ttmp15, v3
// GFX13: v_med3_i16 v5, vcc_lo, ttmp15, v3       ; encoding: [0x05,0x00,0x58,0xd7,0x6a,0xf6,0x0c,0x04]

v_med3_i16 v5, vcc_hi, 0xfe0b, v255
// GFX13: v_med3_i16 v5, vcc_hi, 0xfe0b, v255     ; encoding: [0x05,0x00,0x58,0xd7,0x6b,0xfe,0xfd,0x07,0x0b,0xfe,0x00,0x00]

v_med3_i16 v5, ttmp15, src_scc, ttmp15
// GFX13: v_med3_i16 v5, ttmp15, src_scc, ttmp15  ; encoding: [0x05,0x00,0x58,0xd7,0x7b,0xfa,0xed,0x01]

v_med3_i16 v5, m0, 0.5, m0
// GFX13: v_med3_i16 v5, m0, 0.5, m0              ; encoding: [0x05,0x00,0x58,0xd7,0x7d,0xe0,0xf5,0x01]

v_med3_i16 v5, exec_lo, -1, vcc_hi
// GFX13: v_med3_i16 v5, exec_lo, -1, vcc_hi      ; encoding: [0x05,0x00,0x58,0xd7,0x7e,0x82,0xad,0x01]

v_med3_i16 v5, exec_hi, null, vcc_lo op_sel:[1,1,1,1]
// GFX13: v_med3_i16 v5, exec_hi, null, vcc_lo op_sel:[1,1,1,1] ; encoding: [0x05,0x78,0x58,0xd7,0x7f,0xf8,0xa8,0x01]

v_med3_i16 v5, null, exec_lo, 0xfe0b op_sel:[0,0,0,0]
// GFX13: v_med3_i16 v5, null, exec_lo, 0xfe0b    ; encoding: [0x05,0x00,0x58,0xd7,0x7c,0xfc,0xfc,0x03,0x0b,0xfe,0x00,0x00]

v_med3_i16 v5, -1, exec_hi, src_scc op_sel:[1,0,0,0]
// GFX13: v_med3_i16 v5, -1, exec_hi, src_scc op_sel:[1,0,0,0] ; encoding: [0x05,0x08,0x58,0xd7,0xc1,0xfe,0xf4,0x03]

v_med3_i16 v5, 0.5, m0, 0.5 op_sel:[0,1,0,0]
// GFX13: v_med3_i16 v5, 0.5, m0, 0.5 op_sel:[0,1,0,0] ; encoding: [0x05,0x10,0x58,0xd7,0xf0,0xfa,0xc0,0x03]

v_med3_i16 v5, src_scc, vcc_lo, -1 op_sel:[0,0,1,0]
// GFX13: v_med3_i16 v5, src_scc, vcc_lo, -1 op_sel:[0,0,1,0] ; encoding: [0x05,0x20,0x58,0xd7,0xfd,0xd4,0x04,0x03]

v_med3_i16 v255, 0xfe0b, vcc_hi, null op_sel:[0,0,0,1]
// GFX13: v_med3_i16 v255, 0xfe0b, vcc_hi, null op_sel:[0,0,0,1] ; encoding: [0xff,0x40,0x58,0xd7,0xff,0xd6,0xf0,0x01,0x0b,0xfe,0x00,0x00]

v_med3_i32 v5, v1, v2, s3
// GFX13: v_med3_i32 v5, v1, v2, s3               ; encoding: [0x05,0x00,0x20,0xd6,0x01,0x05,0x0e,0x00]

v_med3_i32 v5, v255, s2, s105
// GFX13: v_med3_i32 v5, v255, s2, s105           ; encoding: [0x05,0x00,0x20,0xd6,0xff,0x05,0xa4,0x01]

v_med3_i32 v5, s1, v255, exec_hi
// GFX13: v_med3_i32 v5, s1, v255, exec_hi        ; encoding: [0x05,0x00,0x20,0xd6,0x01,0xfe,0xff,0x01]

v_med3_i32 v5, s105, s105, exec_lo
// GFX13: v_med3_i32 v5, s105, s105, exec_lo      ; encoding: [0x05,0x00,0x20,0xd6,0x69,0xd2,0xf8,0x01]

v_med3_i32 v5, vcc_lo, ttmp15, v3
// GFX13: v_med3_i32 v5, vcc_lo, ttmp15, v3       ; encoding: [0x05,0x00,0x20,0xd6,0x6a,0xf6,0x0c,0x04]

v_med3_i32 v5, vcc_hi, 0xaf123456, v255
// GFX13: v_med3_i32 v5, vcc_hi, 0xaf123456, v255 ; encoding: [0x05,0x00,0x20,0xd6,0x6b,0xfe,0xfd,0x07,0x56,0x34,0x12,0xaf]

v_med3_i32 v5, ttmp15, src_scc, ttmp15
// GFX13: v_med3_i32 v5, ttmp15, src_scc, ttmp15  ; encoding: [0x05,0x00,0x20,0xd6,0x7b,0xfa,0xed,0x01]

v_med3_i32 v5, m0, 0.5, m0
// GFX13: v_med3_i32 v5, m0, 0.5, m0              ; encoding: [0x05,0x00,0x20,0xd6,0x7d,0xe0,0xf5,0x01]

v_med3_i32 v5, exec_lo, -1, vcc_hi
// GFX13: v_med3_i32 v5, exec_lo, -1, vcc_hi      ; encoding: [0x05,0x00,0x20,0xd6,0x7e,0x82,0xad,0x01]

v_med3_i32 v5, exec_hi, null, vcc_lo
// GFX13: v_med3_i32 v5, exec_hi, null, vcc_lo    ; encoding: [0x05,0x00,0x20,0xd6,0x7f,0xf8,0xa8,0x01]

v_med3_i32 v5, null, exec_lo, 0xaf123456
// GFX13: v_med3_i32 v5, null, exec_lo, 0xaf123456 ; encoding: [0x05,0x00,0x20,0xd6,0x7c,0xfc,0xfc,0x03,0x56,0x34,0x12,0xaf]

v_med3_i32 v5, -1, exec_hi, src_scc
// GFX13: v_med3_i32 v5, -1, exec_hi, src_scc     ; encoding: [0x05,0x00,0x20,0xd6,0xc1,0xfe,0xf4,0x03]

v_med3_i32 v5, 0.5, m0, 0.5
// GFX13: v_med3_i32 v5, 0.5, m0, 0.5             ; encoding: [0x05,0x00,0x20,0xd6,0xf0,0xfa,0xc0,0x03]

v_med3_i32 v5, src_scc, vcc_lo, -1
// GFX13: v_med3_i32 v5, src_scc, vcc_lo, -1      ; encoding: [0x05,0x00,0x20,0xd6,0xfd,0xd4,0x04,0x03]

v_med3_i32 v255, 0xaf123456, vcc_hi, null
// GFX13: v_med3_i32 v255, 0xaf123456, vcc_hi, null ; encoding: [0xff,0x00,0x20,0xd6,0xff,0xd6,0xf0,0x01,0x56,0x34,0x12,0xaf]

v_med3_u16 v5, v1, v2, s3
// GFX13: v_med3_u16 v5, v1, v2, s3               ; encoding: [0x05,0x00,0x59,0xd7,0x01,0x05,0x0e,0x00]

v_med3_u16 v5, v255, s2, s105
// GFX13: v_med3_u16 v5, v255, s2, s105           ; encoding: [0x05,0x00,0x59,0xd7,0xff,0x05,0xa4,0x01]

v_med3_u16 v5, s1, v255, exec_hi
// GFX13: v_med3_u16 v5, s1, v255, exec_hi        ; encoding: [0x05,0x00,0x59,0xd7,0x01,0xfe,0xff,0x01]

v_med3_u16 v5, s105, s105, exec_lo
// GFX13: v_med3_u16 v5, s105, s105, exec_lo      ; encoding: [0x05,0x00,0x59,0xd7,0x69,0xd2,0xf8,0x01]

v_med3_u16 v5, vcc_lo, ttmp15, v3
// GFX13: v_med3_u16 v5, vcc_lo, ttmp15, v3       ; encoding: [0x05,0x00,0x59,0xd7,0x6a,0xf6,0x0c,0x04]

v_med3_u16 v5, vcc_hi, 0xfe0b, v255
// GFX13: v_med3_u16 v5, vcc_hi, 0xfe0b, v255     ; encoding: [0x05,0x00,0x59,0xd7,0x6b,0xfe,0xfd,0x07,0x0b,0xfe,0x00,0x00]

v_med3_u16 v5, ttmp15, src_scc, ttmp15
// GFX13: v_med3_u16 v5, ttmp15, src_scc, ttmp15  ; encoding: [0x05,0x00,0x59,0xd7,0x7b,0xfa,0xed,0x01]

v_med3_u16 v5, m0, 0.5, m0
// GFX13: v_med3_u16 v5, m0, 0.5, m0              ; encoding: [0x05,0x00,0x59,0xd7,0x7d,0xe0,0xf5,0x01]

v_med3_u16 v5, exec_lo, -1, vcc_hi
// GFX13: v_med3_u16 v5, exec_lo, -1, vcc_hi      ; encoding: [0x05,0x00,0x59,0xd7,0x7e,0x82,0xad,0x01]

v_med3_u16 v5, exec_hi, null, vcc_lo op_sel:[1,1,1,1]
// GFX13: v_med3_u16 v5, exec_hi, null, vcc_lo op_sel:[1,1,1,1] ; encoding: [0x05,0x78,0x59,0xd7,0x7f,0xf8,0xa8,0x01]

v_med3_u16 v5, null, exec_lo, 0xfe0b op_sel:[0,0,0,0]
// GFX13: v_med3_u16 v5, null, exec_lo, 0xfe0b    ; encoding: [0x05,0x00,0x59,0xd7,0x7c,0xfc,0xfc,0x03,0x0b,0xfe,0x00,0x00]

v_med3_u16 v5, -1, exec_hi, src_scc op_sel:[1,0,0,0]
// GFX13: v_med3_u16 v5, -1, exec_hi, src_scc op_sel:[1,0,0,0] ; encoding: [0x05,0x08,0x59,0xd7,0xc1,0xfe,0xf4,0x03]

v_med3_u16 v5, 0.5, m0, 0.5 op_sel:[0,1,0,0]
// GFX13: v_med3_u16 v5, 0.5, m0, 0.5 op_sel:[0,1,0,0] ; encoding: [0x05,0x10,0x59,0xd7,0xf0,0xfa,0xc0,0x03]

v_med3_u16 v5, src_scc, vcc_lo, -1 op_sel:[0,0,1,0]
// GFX13: v_med3_u16 v5, src_scc, vcc_lo, -1 op_sel:[0,0,1,0] ; encoding: [0x05,0x20,0x59,0xd7,0xfd,0xd4,0x04,0x03]

v_med3_u16 v255, 0xfe0b, vcc_hi, null op_sel:[0,0,0,1]
// GFX13: v_med3_u16 v255, 0xfe0b, vcc_hi, null op_sel:[0,0,0,1] ; encoding: [0xff,0x40,0x59,0xd7,0xff,0xd6,0xf0,0x01,0x0b,0xfe,0x00,0x00]

v_med3_u32 v5, v1, v2, s3
// GFX13: v_med3_u32 v5, v1, v2, s3               ; encoding: [0x05,0x00,0x21,0xd6,0x01,0x05,0x0e,0x00]

v_med3_u32 v5, v255, s2, s105
// GFX13: v_med3_u32 v5, v255, s2, s105           ; encoding: [0x05,0x00,0x21,0xd6,0xff,0x05,0xa4,0x01]

v_med3_u32 v5, s1, v255, exec_hi
// GFX13: v_med3_u32 v5, s1, v255, exec_hi        ; encoding: [0x05,0x00,0x21,0xd6,0x01,0xfe,0xff,0x01]

v_med3_u32 v5, s105, s105, exec_lo
// GFX13: v_med3_u32 v5, s105, s105, exec_lo      ; encoding: [0x05,0x00,0x21,0xd6,0x69,0xd2,0xf8,0x01]

v_med3_u32 v5, vcc_lo, ttmp15, v3
// GFX13: v_med3_u32 v5, vcc_lo, ttmp15, v3       ; encoding: [0x05,0x00,0x21,0xd6,0x6a,0xf6,0x0c,0x04]

v_med3_u32 v5, vcc_hi, 0xaf123456, v255
// GFX13: v_med3_u32 v5, vcc_hi, 0xaf123456, v255 ; encoding: [0x05,0x00,0x21,0xd6,0x6b,0xfe,0xfd,0x07,0x56,0x34,0x12,0xaf]

v_med3_u32 v5, ttmp15, src_scc, ttmp15
// GFX13: v_med3_u32 v5, ttmp15, src_scc, ttmp15  ; encoding: [0x05,0x00,0x21,0xd6,0x7b,0xfa,0xed,0x01]

v_med3_u32 v5, m0, 0.5, m0
// GFX13: v_med3_u32 v5, m0, 0.5, m0              ; encoding: [0x05,0x00,0x21,0xd6,0x7d,0xe0,0xf5,0x01]

v_med3_u32 v5, exec_lo, -1, vcc_hi
// GFX13: v_med3_u32 v5, exec_lo, -1, vcc_hi      ; encoding: [0x05,0x00,0x21,0xd6,0x7e,0x82,0xad,0x01]

v_med3_u32 v5, exec_hi, null, vcc_lo
// GFX13: v_med3_u32 v5, exec_hi, null, vcc_lo    ; encoding: [0x05,0x00,0x21,0xd6,0x7f,0xf8,0xa8,0x01]

v_med3_u32 v5, null, exec_lo, 0xaf123456
// GFX13: v_med3_u32 v5, null, exec_lo, 0xaf123456 ; encoding: [0x05,0x00,0x21,0xd6,0x7c,0xfc,0xfc,0x03,0x56,0x34,0x12,0xaf]

v_med3_u32 v5, -1, exec_hi, src_scc
// GFX13: v_med3_u32 v5, -1, exec_hi, src_scc     ; encoding: [0x05,0x00,0x21,0xd6,0xc1,0xfe,0xf4,0x03]

v_med3_u32 v5, 0.5, m0, 0.5
// GFX13: v_med3_u32 v5, 0.5, m0, 0.5             ; encoding: [0x05,0x00,0x21,0xd6,0xf0,0xfa,0xc0,0x03]

v_med3_u32 v5, src_scc, vcc_lo, -1
// GFX13: v_med3_u32 v5, src_scc, vcc_lo, -1      ; encoding: [0x05,0x00,0x21,0xd6,0xfd,0xd4,0x04,0x03]

v_med3_u32 v255, 0xaf123456, vcc_hi, null
// GFX13: v_med3_u32 v255, 0xaf123456, vcc_hi, null ; encoding: [0xff,0x00,0x21,0xd6,0xff,0xd6,0xf0,0x01,0x56,0x34,0x12,0xaf]

v_min3_num_f16 v5, v1, v2, s3
// GFX13: v_min3_num_f16 v5, v1, v2, s3           ; encoding: [0x05,0x00,0x51,0xd7,0x01,0x05,0x0e,0x00]

v_min3_num_f16 v5, v255, s2, s105
// GFX13: v_min3_num_f16 v5, v255, s2, s105       ; encoding: [0x05,0x00,0x51,0xd7,0xff,0x05,0xa4,0x01]

v_min3_num_f16 v5, s1, v255, exec_hi
// GFX13: v_min3_num_f16 v5, s1, v255, exec_hi    ; encoding: [0x05,0x00,0x51,0xd7,0x01,0xfe,0xff,0x01]

v_min3_num_f16 v5, s105, s105, exec_lo
// GFX13: v_min3_num_f16 v5, s105, s105, exec_lo  ; encoding: [0x05,0x00,0x51,0xd7,0x69,0xd2,0xf8,0x01]

v_min3_num_f16 v5, vcc_lo, ttmp15, v3
// GFX13: v_min3_num_f16 v5, vcc_lo, ttmp15, v3   ; encoding: [0x05,0x00,0x51,0xd7,0x6a,0xf6,0x0c,0x04]

v_min3_num_f16 v5, vcc_hi, 0xfe0b, v255
// GFX13: v_min3_num_f16 v5, vcc_hi, 0xfe0b, v255 ; encoding: [0x05,0x00,0x51,0xd7,0x6b,0xfe,0xfd,0x07,0x0b,0xfe,0x00,0x00]

v_min3_num_f16 v5, -|ttmp15|, -|src_scc|, -|ttmp15|
// GFX13: v_min3_num_f16 v5, -|ttmp15|, -|src_scc|, -|ttmp15| ; encoding: [0x05,0x07,0x51,0xd7,0x7b,0xfa,0xed,0xe1]

v_min3_num_f16 v5, m0, 0.5, m0
// GFX13: v_min3_num_f16 v5, m0, 0.5, m0          ; encoding: [0x05,0x00,0x51,0xd7,0x7d,0xe0,0xf5,0x01]

v_min3_num_f16 v5, |exec_lo|, -1, vcc_hi
// GFX13: v_min3_num_f16 v5, |exec_lo|, -1, vcc_hi ; encoding: [0x05,0x01,0x51,0xd7,0x7e,0x82,0xad,0x01]

v_min3_num_f16 v5, -|exec_hi|, null, -|vcc_lo| op_sel:[1,1,1,1]
// GFX13: v_min3_num_f16 v5, -|exec_hi|, null, -|vcc_lo| op_sel:[1,1,1,1] ; encoding: [0x05,0x7d,0x51,0xd7,0x7f,0xf8,0xa8,0xa1]

v_min3_num_f16 v5, null, exec_lo, -|0xfe0b| op_sel:[0,0,0,0]
// GFX13: v_min3_num_f16 v5, null, exec_lo, -|0xfe0b| ; encoding: [0x05,0x04,0x51,0xd7,0x7c,0xfc,0xfc,0x83,0x0b,0xfe,0x00,0x00]

v_min3_num_f16 v5, -1, -|exec_hi|, -|src_scc| op_sel:[1,0,0,0]
// GFX13: v_min3_num_f16 v5, -1, -|exec_hi|, -|src_scc| op_sel:[1,0,0,0] ; encoding: [0x05,0x0e,0x51,0xd7,0xc1,0xfe,0xf4,0xc3]

v_min3_num_f16 v5, 0.5, -m0, 0.5 op_sel:[0,1,0,0]
// GFX13: v_min3_num_f16 v5, 0.5, -m0, 0.5 op_sel:[0,1,0,0] ; encoding: [0x05,0x10,0x51,0xd7,0xf0,0xfa,0xc0,0x43]

v_min3_num_f16 v5, -src_scc, |vcc_lo|, -1 op_sel:[0,0,1,0]
// GFX13: v_min3_num_f16 v5, -src_scc, |vcc_lo|, -1 op_sel:[0,0,1,0] ; encoding: [0x05,0x22,0x51,0xd7,0xfd,0xd4,0x04,0x23]

v_min3_num_f16 v255, -|0xfe0b|, -|vcc_hi|, null op_sel:[0,0,0,1] clamp
// GFX13: v_min3_num_f16 v255, -|0xfe0b|, -|vcc_hi|, null op_sel:[0,0,0,1] clamp ; encoding: [0xff,0xc3,0x51,0xd7,0xff,0xd6,0xf0,0x61,0x0b,0xfe,0x00,0x00]

v_min3_num_f32 v5, v1, v2, s3
// GFX13: v_min3_num_f32 v5, v1, v2, s3           ; encoding: [0x05,0x00,0x29,0xd6,0x01,0x05,0x0e,0x00]

v_min3_num_f32 v5, v255, s2, s105
// GFX13: v_min3_num_f32 v5, v255, s2, s105       ; encoding: [0x05,0x00,0x29,0xd6,0xff,0x05,0xa4,0x01]

v_min3_num_f32 v5, s1, v255, exec_hi
// GFX13: v_min3_num_f32 v5, s1, v255, exec_hi    ; encoding: [0x05,0x00,0x29,0xd6,0x01,0xfe,0xff,0x01]

v_min3_num_f32 v5, s105, s105, exec_lo
// GFX13: v_min3_num_f32 v5, s105, s105, exec_lo  ; encoding: [0x05,0x00,0x29,0xd6,0x69,0xd2,0xf8,0x01]

v_min3_num_f32 v5, vcc_lo, ttmp15, v3
// GFX13: v_min3_num_f32 v5, vcc_lo, ttmp15, v3   ; encoding: [0x05,0x00,0x29,0xd6,0x6a,0xf6,0x0c,0x04]

v_min3_num_f32 v5, vcc_hi, 0xaf123456, v255
// GFX13: v_min3_num_f32 v5, vcc_hi, 0xaf123456, v255 ; encoding: [0x05,0x00,0x29,0xd6,0x6b,0xfe,0xfd,0x07,0x56,0x34,0x12,0xaf]

v_min3_num_f32 v5, -|ttmp15|, -|src_scc|, -|ttmp15|
// GFX13: v_min3_num_f32 v5, -|ttmp15|, -|src_scc|, -|ttmp15| ; encoding: [0x05,0x07,0x29,0xd6,0x7b,0xfa,0xed,0xe1]

v_min3_num_f32 v5, m0, 0.5, m0
// GFX13: v_min3_num_f32 v5, m0, 0.5, m0          ; encoding: [0x05,0x00,0x29,0xd6,0x7d,0xe0,0xf5,0x01]

v_min3_num_f32 v5, |exec_lo|, -1, vcc_hi
// GFX13: v_min3_num_f32 v5, |exec_lo|, -1, vcc_hi ; encoding: [0x05,0x01,0x29,0xd6,0x7e,0x82,0xad,0x01]

v_min3_num_f32 v5, -|exec_hi|, null, -|vcc_lo|
// GFX13: v_min3_num_f32 v5, -|exec_hi|, null, -|vcc_lo| ; encoding: [0x05,0x05,0x29,0xd6,0x7f,0xf8,0xa8,0xa1]

v_min3_num_f32 v5, null, exec_lo, -|0xaf123456|
// GFX13: v_min3_num_f32 v5, null, exec_lo, -|0xaf123456| ; encoding: [0x05,0x04,0x29,0xd6,0x7c,0xfc,0xfc,0x83,0x56,0x34,0x12,0xaf]

v_min3_num_f32 v5, -1, -|exec_hi|, -|src_scc|
// GFX13: v_min3_num_f32 v5, -1, -|exec_hi|, -|src_scc| ; encoding: [0x05,0x06,0x29,0xd6,0xc1,0xfe,0xf4,0xc3]

v_min3_num_f32 v5, 0.5, -m0, 0.5 mul:2
// GFX13: v_min3_num_f32 v5, 0.5, -m0, 0.5 mul:2  ; encoding: [0x05,0x00,0x29,0xd6,0xf0,0xfa,0xc0,0x4b]

v_min3_num_f32 v5, -src_scc, |vcc_lo|, -1 mul:4
// GFX13: v_min3_num_f32 v5, -src_scc, |vcc_lo|, -1 mul:4 ; encoding: [0x05,0x02,0x29,0xd6,0xfd,0xd4,0x04,0x33]

v_min3_num_f32 v255, -|0xaf123456|, -|vcc_hi|, null clamp div:2
// GFX13: v_min3_num_f32 v255, -|0xaf123456|, -|vcc_hi|, null clamp div:2 ; encoding: [0xff,0x83,0x29,0xd6,0xff,0xd6,0xf0,0x79,0x56,0x34,0x12,0xaf]

v_min3_i16 v5, v1, v2, s3
// GFX13: v_min3_i16 v5, v1, v2, s3               ; encoding: [0x05,0x00,0x52,0xd7,0x01,0x05,0x0e,0x00]

v_min3_i16 v5, v255, s2, s105
// GFX13: v_min3_i16 v5, v255, s2, s105           ; encoding: [0x05,0x00,0x52,0xd7,0xff,0x05,0xa4,0x01]

v_min3_i16 v5, s1, v255, exec_hi
// GFX13: v_min3_i16 v5, s1, v255, exec_hi        ; encoding: [0x05,0x00,0x52,0xd7,0x01,0xfe,0xff,0x01]

v_min3_i16 v5, s105, s105, exec_lo
// GFX13: v_min3_i16 v5, s105, s105, exec_lo      ; encoding: [0x05,0x00,0x52,0xd7,0x69,0xd2,0xf8,0x01]

v_min3_i16 v5, vcc_lo, ttmp15, v3
// GFX13: v_min3_i16 v5, vcc_lo, ttmp15, v3       ; encoding: [0x05,0x00,0x52,0xd7,0x6a,0xf6,0x0c,0x04]

v_min3_i16 v5, vcc_hi, 0xfe0b, v255
// GFX13: v_min3_i16 v5, vcc_hi, 0xfe0b, v255     ; encoding: [0x05,0x00,0x52,0xd7,0x6b,0xfe,0xfd,0x07,0x0b,0xfe,0x00,0x00]

v_min3_i16 v5, ttmp15, src_scc, ttmp15
// GFX13: v_min3_i16 v5, ttmp15, src_scc, ttmp15  ; encoding: [0x05,0x00,0x52,0xd7,0x7b,0xfa,0xed,0x01]

v_min3_i16 v5, m0, 0.5, m0
// GFX13: v_min3_i16 v5, m0, 0.5, m0              ; encoding: [0x05,0x00,0x52,0xd7,0x7d,0xe0,0xf5,0x01]

v_min3_i16 v5, exec_lo, -1, vcc_hi
// GFX13: v_min3_i16 v5, exec_lo, -1, vcc_hi      ; encoding: [0x05,0x00,0x52,0xd7,0x7e,0x82,0xad,0x01]

v_min3_i16 v5, exec_hi, null, vcc_lo op_sel:[1,1,1,1]
// GFX13: v_min3_i16 v5, exec_hi, null, vcc_lo op_sel:[1,1,1,1] ; encoding: [0x05,0x78,0x52,0xd7,0x7f,0xf8,0xa8,0x01]

v_min3_i16 v5, null, exec_lo, 0xfe0b op_sel:[0,0,0,0]
// GFX13: v_min3_i16 v5, null, exec_lo, 0xfe0b    ; encoding: [0x05,0x00,0x52,0xd7,0x7c,0xfc,0xfc,0x03,0x0b,0xfe,0x00,0x00]

v_min3_i16 v5, -1, exec_hi, src_scc op_sel:[1,0,0,0]
// GFX13: v_min3_i16 v5, -1, exec_hi, src_scc op_sel:[1,0,0,0] ; encoding: [0x05,0x08,0x52,0xd7,0xc1,0xfe,0xf4,0x03]

v_min3_i16 v5, 0.5, m0, 0.5 op_sel:[0,1,0,0]
// GFX13: v_min3_i16 v5, 0.5, m0, 0.5 op_sel:[0,1,0,0] ; encoding: [0x05,0x10,0x52,0xd7,0xf0,0xfa,0xc0,0x03]

v_min3_i16 v5, src_scc, vcc_lo, -1 op_sel:[0,0,1,0]
// GFX13: v_min3_i16 v5, src_scc, vcc_lo, -1 op_sel:[0,0,1,0] ; encoding: [0x05,0x20,0x52,0xd7,0xfd,0xd4,0x04,0x03]

v_min3_i16 v255, 0xfe0b, vcc_hi, null op_sel:[0,0,0,1]
// GFX13: v_min3_i16 v255, 0xfe0b, vcc_hi, null op_sel:[0,0,0,1] ; encoding: [0xff,0x40,0x52,0xd7,0xff,0xd6,0xf0,0x01,0x0b,0xfe,0x00,0x00]

v_min3_i32 v5, v1, v2, s3
// GFX13: v_min3_i32 v5, v1, v2, s3               ; encoding: [0x05,0x00,0x1a,0xd6,0x01,0x05,0x0e,0x00]

v_min3_i32 v5, v255, s2, s105
// GFX13: v_min3_i32 v5, v255, s2, s105           ; encoding: [0x05,0x00,0x1a,0xd6,0xff,0x05,0xa4,0x01]

v_min3_i32 v5, s1, v255, exec_hi
// GFX13: v_min3_i32 v5, s1, v255, exec_hi        ; encoding: [0x05,0x00,0x1a,0xd6,0x01,0xfe,0xff,0x01]

v_min3_i32 v5, s105, s105, exec_lo
// GFX13: v_min3_i32 v5, s105, s105, exec_lo      ; encoding: [0x05,0x00,0x1a,0xd6,0x69,0xd2,0xf8,0x01]

v_min3_i32 v5, vcc_lo, ttmp15, v3
// GFX13: v_min3_i32 v5, vcc_lo, ttmp15, v3       ; encoding: [0x05,0x00,0x1a,0xd6,0x6a,0xf6,0x0c,0x04]

v_min3_i32 v5, vcc_hi, 0xaf123456, v255
// GFX13: v_min3_i32 v5, vcc_hi, 0xaf123456, v255 ; encoding: [0x05,0x00,0x1a,0xd6,0x6b,0xfe,0xfd,0x07,0x56,0x34,0x12,0xaf]

v_min3_i32 v5, ttmp15, src_scc, ttmp15
// GFX13: v_min3_i32 v5, ttmp15, src_scc, ttmp15  ; encoding: [0x05,0x00,0x1a,0xd6,0x7b,0xfa,0xed,0x01]

v_min3_i32 v5, m0, 0.5, m0
// GFX13: v_min3_i32 v5, m0, 0.5, m0              ; encoding: [0x05,0x00,0x1a,0xd6,0x7d,0xe0,0xf5,0x01]

v_min3_i32 v5, exec_lo, -1, vcc_hi
// GFX13: v_min3_i32 v5, exec_lo, -1, vcc_hi      ; encoding: [0x05,0x00,0x1a,0xd6,0x7e,0x82,0xad,0x01]

v_min3_i32 v5, exec_hi, null, vcc_lo
// GFX13: v_min3_i32 v5, exec_hi, null, vcc_lo    ; encoding: [0x05,0x00,0x1a,0xd6,0x7f,0xf8,0xa8,0x01]

v_min3_i32 v5, null, exec_lo, 0xaf123456
// GFX13: v_min3_i32 v5, null, exec_lo, 0xaf123456 ; encoding: [0x05,0x00,0x1a,0xd6,0x7c,0xfc,0xfc,0x03,0x56,0x34,0x12,0xaf]

v_min3_i32 v5, -1, exec_hi, src_scc
// GFX13: v_min3_i32 v5, -1, exec_hi, src_scc     ; encoding: [0x05,0x00,0x1a,0xd6,0xc1,0xfe,0xf4,0x03]

v_min3_i32 v5, 0.5, m0, 0.5
// GFX13: v_min3_i32 v5, 0.5, m0, 0.5             ; encoding: [0x05,0x00,0x1a,0xd6,0xf0,0xfa,0xc0,0x03]

v_min3_i32 v5, src_scc, vcc_lo, -1
// GFX13: v_min3_i32 v5, src_scc, vcc_lo, -1      ; encoding: [0x05,0x00,0x1a,0xd6,0xfd,0xd4,0x04,0x03]

v_min3_i32 v255, 0xaf123456, vcc_hi, null
// GFX13: v_min3_i32 v255, 0xaf123456, vcc_hi, null ; encoding: [0xff,0x00,0x1a,0xd6,0xff,0xd6,0xf0,0x01,0x56,0x34,0x12,0xaf]

v_min3_u16 v5, v1, v2, s3
// GFX13: v_min3_u16 v5, v1, v2, s3               ; encoding: [0x05,0x00,0x53,0xd7,0x01,0x05,0x0e,0x00]

v_min3_u16 v5, v255, s2, s105
// GFX13: v_min3_u16 v5, v255, s2, s105           ; encoding: [0x05,0x00,0x53,0xd7,0xff,0x05,0xa4,0x01]

v_min3_u16 v5, s1, v255, exec_hi
// GFX13: v_min3_u16 v5, s1, v255, exec_hi        ; encoding: [0x05,0x00,0x53,0xd7,0x01,0xfe,0xff,0x01]

v_min3_u16 v5, s105, s105, exec_lo
// GFX13: v_min3_u16 v5, s105, s105, exec_lo      ; encoding: [0x05,0x00,0x53,0xd7,0x69,0xd2,0xf8,0x01]

v_min3_u16 v5, vcc_lo, ttmp15, v3
// GFX13: v_min3_u16 v5, vcc_lo, ttmp15, v3       ; encoding: [0x05,0x00,0x53,0xd7,0x6a,0xf6,0x0c,0x04]

v_min3_u16 v5, vcc_hi, 0xfe0b, v255
// GFX13: v_min3_u16 v5, vcc_hi, 0xfe0b, v255     ; encoding: [0x05,0x00,0x53,0xd7,0x6b,0xfe,0xfd,0x07,0x0b,0xfe,0x00,0x00]

v_min3_u16 v5, ttmp15, src_scc, ttmp15
// GFX13: v_min3_u16 v5, ttmp15, src_scc, ttmp15  ; encoding: [0x05,0x00,0x53,0xd7,0x7b,0xfa,0xed,0x01]

v_min3_u16 v5, m0, 0.5, m0
// GFX13: v_min3_u16 v5, m0, 0.5, m0              ; encoding: [0x05,0x00,0x53,0xd7,0x7d,0xe0,0xf5,0x01]

v_min3_u16 v5, exec_lo, -1, vcc_hi
// GFX13: v_min3_u16 v5, exec_lo, -1, vcc_hi      ; encoding: [0x05,0x00,0x53,0xd7,0x7e,0x82,0xad,0x01]

v_min3_u16 v5, exec_hi, null, vcc_lo op_sel:[1,1,1,1]
// GFX13: v_min3_u16 v5, exec_hi, null, vcc_lo op_sel:[1,1,1,1] ; encoding: [0x05,0x78,0x53,0xd7,0x7f,0xf8,0xa8,0x01]

v_min3_u16 v5, null, exec_lo, 0xfe0b op_sel:[0,0,0,0]
// GFX13: v_min3_u16 v5, null, exec_lo, 0xfe0b    ; encoding: [0x05,0x00,0x53,0xd7,0x7c,0xfc,0xfc,0x03,0x0b,0xfe,0x00,0x00]

v_min3_u16 v5, -1, exec_hi, src_scc op_sel:[1,0,0,0]
// GFX13: v_min3_u16 v5, -1, exec_hi, src_scc op_sel:[1,0,0,0] ; encoding: [0x05,0x08,0x53,0xd7,0xc1,0xfe,0xf4,0x03]

v_min3_u16 v5, 0.5, m0, 0.5 op_sel:[0,1,0,0]
// GFX13: v_min3_u16 v5, 0.5, m0, 0.5 op_sel:[0,1,0,0] ; encoding: [0x05,0x10,0x53,0xd7,0xf0,0xfa,0xc0,0x03]

v_min3_u16 v5, src_scc, vcc_lo, -1 op_sel:[0,0,1,0]
// GFX13: v_min3_u16 v5, src_scc, vcc_lo, -1 op_sel:[0,0,1,0] ; encoding: [0x05,0x20,0x53,0xd7,0xfd,0xd4,0x04,0x03]

v_min3_u16 v255, 0xfe0b, vcc_hi, null op_sel:[0,0,0,1]
// GFX13: v_min3_u16 v255, 0xfe0b, vcc_hi, null op_sel:[0,0,0,1] ; encoding: [0xff,0x40,0x53,0xd7,0xff,0xd6,0xf0,0x01,0x0b,0xfe,0x00,0x00]

v_min3_u32 v5, v1, v2, s3
// GFX13: v_min3_u32 v5, v1, v2, s3               ; encoding: [0x05,0x00,0x1b,0xd6,0x01,0x05,0x0e,0x00]

v_min3_u32 v5, v255, s2, s105
// GFX13: v_min3_u32 v5, v255, s2, s105           ; encoding: [0x05,0x00,0x1b,0xd6,0xff,0x05,0xa4,0x01]

v_min3_u32 v5, s1, v255, exec_hi
// GFX13: v_min3_u32 v5, s1, v255, exec_hi        ; encoding: [0x05,0x00,0x1b,0xd6,0x01,0xfe,0xff,0x01]

v_min3_u32 v5, s105, s105, exec_lo
// GFX13: v_min3_u32 v5, s105, s105, exec_lo      ; encoding: [0x05,0x00,0x1b,0xd6,0x69,0xd2,0xf8,0x01]

v_min3_u32 v5, vcc_lo, ttmp15, v3
// GFX13: v_min3_u32 v5, vcc_lo, ttmp15, v3       ; encoding: [0x05,0x00,0x1b,0xd6,0x6a,0xf6,0x0c,0x04]

v_min3_u32 v5, vcc_hi, 0xaf123456, v255
// GFX13: v_min3_u32 v5, vcc_hi, 0xaf123456, v255 ; encoding: [0x05,0x00,0x1b,0xd6,0x6b,0xfe,0xfd,0x07,0x56,0x34,0x12,0xaf]

v_min3_u32 v5, ttmp15, src_scc, ttmp15
// GFX13: v_min3_u32 v5, ttmp15, src_scc, ttmp15  ; encoding: [0x05,0x00,0x1b,0xd6,0x7b,0xfa,0xed,0x01]

v_min3_u32 v5, m0, 0.5, m0
// GFX13: v_min3_u32 v5, m0, 0.5, m0              ; encoding: [0x05,0x00,0x1b,0xd6,0x7d,0xe0,0xf5,0x01]

v_min3_u32 v5, exec_lo, -1, vcc_hi
// GFX13: v_min3_u32 v5, exec_lo, -1, vcc_hi      ; encoding: [0x05,0x00,0x1b,0xd6,0x7e,0x82,0xad,0x01]

v_min3_u32 v5, exec_hi, null, vcc_lo
// GFX13: v_min3_u32 v5, exec_hi, null, vcc_lo    ; encoding: [0x05,0x00,0x1b,0xd6,0x7f,0xf8,0xa8,0x01]

v_min3_u32 v5, null, exec_lo, 0xaf123456
// GFX13: v_min3_u32 v5, null, exec_lo, 0xaf123456 ; encoding: [0x05,0x00,0x1b,0xd6,0x7c,0xfc,0xfc,0x03,0x56,0x34,0x12,0xaf]

v_min3_u32 v5, -1, exec_hi, src_scc
// GFX13: v_min3_u32 v5, -1, exec_hi, src_scc     ; encoding: [0x05,0x00,0x1b,0xd6,0xc1,0xfe,0xf4,0x03]

v_min3_u32 v5, 0.5, m0, 0.5
// GFX13: v_min3_u32 v5, 0.5, m0, 0.5             ; encoding: [0x05,0x00,0x1b,0xd6,0xf0,0xfa,0xc0,0x03]

v_min3_u32 v5, src_scc, vcc_lo, -1
// GFX13: v_min3_u32 v5, src_scc, vcc_lo, -1      ; encoding: [0x05,0x00,0x1b,0xd6,0xfd,0xd4,0x04,0x03]

v_min3_u32 v255, 0xaf123456, vcc_hi, null
// GFX13: v_min3_u32 v255, 0xaf123456, vcc_hi, null ; encoding: [0xff,0x00,0x1b,0xd6,0xff,0xd6,0xf0,0x01,0x56,0x34,0x12,0xaf]

v_min_i16 v5, v1, v2
// GFX13: v_min_i16 v5, v1, v2                    ; encoding: [0x05,0x00,0x0c,0xd7,0x01,0x05,0x02,0x02]

v_min_i16 v5, v255, v255
// GFX13: v_min_i16 v5, v255, v255                ; encoding: [0x05,0x00,0x0c,0xd7,0xff,0xff,0x03,0x02]

v_min_i16 v5, s1, s2
// GFX13: v_min_i16 v5, s1, s2                    ; encoding: [0x05,0x00,0x0c,0xd7,0x01,0x04,0x00,0x02]

v_min_i16 v5, s105, s105
// GFX13: v_min_i16 v5, s105, s105                ; encoding: [0x05,0x00,0x0c,0xd7,0x69,0xd2,0x00,0x02]

v_min_i16 v5, vcc_lo, ttmp15
// GFX13: v_min_i16 v5, vcc_lo, ttmp15            ; encoding: [0x05,0x00,0x0c,0xd7,0x6a,0xf6,0x00,0x02]

v_min_i16 v5, vcc_hi, 0xfe0b
// GFX13: v_min_i16 v5, vcc_hi, 0xfe0b            ; encoding: [0x05,0x00,0x0c,0xd7,0x6b,0xfe,0x01,0x02,0x0b,0xfe,0x00,0x00]

v_min_i16 v5, ttmp15, src_scc
// GFX13: v_min_i16 v5, ttmp15, src_scc           ; encoding: [0x05,0x00,0x0c,0xd7,0x7b,0xfa,0x01,0x02]

v_min_i16 v5, m0, 0.5
// GFX13: v_min_i16 v5, m0, 0.5                   ; encoding: [0x05,0x00,0x0c,0xd7,0x7d,0xe0,0x01,0x02]

v_min_i16 v5, exec_lo, -1
// GFX13: v_min_i16 v5, exec_lo, -1               ; encoding: [0x05,0x00,0x0c,0xd7,0x7e,0x82,0x01,0x02]

v_min_i16 v5, exec_hi, null
// GFX13: v_min_i16 v5, exec_hi, null             ; encoding: [0x05,0x00,0x0c,0xd7,0x7f,0xf8,0x00,0x02]

v_min_i16 v5, null, exec_lo
// GFX13: v_min_i16 v5, null, exec_lo             ; encoding: [0x05,0x00,0x0c,0xd7,0x7c,0xfc,0x00,0x02]

v_min_i16 v5, -1, exec_hi
// GFX13: v_min_i16 v5, -1, exec_hi               ; encoding: [0x05,0x00,0x0c,0xd7,0xc1,0xfe,0x00,0x02]

v_min_i16 v5, 0.5, m0
// GFX13: v_min_i16 v5, 0.5, m0                   ; encoding: [0x05,0x00,0x0c,0xd7,0xf0,0xfa,0x00,0x02]

v_min_i16 v5, src_scc, vcc_lo
// GFX13: v_min_i16 v5, src_scc, vcc_lo           ; encoding: [0x05,0x00,0x0c,0xd7,0xfd,0xd4,0x00,0x02]

v_min_i16 v255, 0xfe0b, vcc_hi
// GFX13: v_min_i16 v255, 0xfe0b, vcc_hi          ; encoding: [0xff,0x00,0x0c,0xd7,0xff,0xd6,0x00,0x02,0x0b,0xfe,0x00,0x00]

v_min_u16 v5, v1, v2
// GFX13: v_min_u16 v5, v1, v2                    ; encoding: [0x05,0x00,0x0b,0xd7,0x01,0x05,0x02,0x02]

v_min_u16 v5, v255, v255
// GFX13: v_min_u16 v5, v255, v255                ; encoding: [0x05,0x00,0x0b,0xd7,0xff,0xff,0x03,0x02]

v_min_u16 v5, s1, s2
// GFX13: v_min_u16 v5, s1, s2                    ; encoding: [0x05,0x00,0x0b,0xd7,0x01,0x04,0x00,0x02]

v_min_u16 v5, s105, s105
// GFX13: v_min_u16 v5, s105, s105                ; encoding: [0x05,0x00,0x0b,0xd7,0x69,0xd2,0x00,0x02]

v_min_u16 v5, vcc_lo, ttmp15
// GFX13: v_min_u16 v5, vcc_lo, ttmp15            ; encoding: [0x05,0x00,0x0b,0xd7,0x6a,0xf6,0x00,0x02]

v_min_u16 v5, vcc_hi, 0xfe0b
// GFX13: v_min_u16 v5, vcc_hi, 0xfe0b            ; encoding: [0x05,0x00,0x0b,0xd7,0x6b,0xfe,0x01,0x02,0x0b,0xfe,0x00,0x00]

v_min_u16 v5, ttmp15, src_scc
// GFX13: v_min_u16 v5, ttmp15, src_scc           ; encoding: [0x05,0x00,0x0b,0xd7,0x7b,0xfa,0x01,0x02]

v_min_u16 v5, m0, 0.5
// GFX13: v_min_u16 v5, m0, 0.5                   ; encoding: [0x05,0x00,0x0b,0xd7,0x7d,0xe0,0x01,0x02]

v_min_u16 v5, exec_lo, -1
// GFX13: v_min_u16 v5, exec_lo, -1               ; encoding: [0x05,0x00,0x0b,0xd7,0x7e,0x82,0x01,0x02]

v_min_u16 v5, exec_hi, null
// GFX13: v_min_u16 v5, exec_hi, null             ; encoding: [0x05,0x00,0x0b,0xd7,0x7f,0xf8,0x00,0x02]

v_min_u16 v5, null, exec_lo
// GFX13: v_min_u16 v5, null, exec_lo             ; encoding: [0x05,0x00,0x0b,0xd7,0x7c,0xfc,0x00,0x02]

v_min_u16 v5, -1, exec_hi
// GFX13: v_min_u16 v5, -1, exec_hi               ; encoding: [0x05,0x00,0x0b,0xd7,0xc1,0xfe,0x00,0x02]

v_min_u16 v5, 0.5, m0
// GFX13: v_min_u16 v5, 0.5, m0                   ; encoding: [0x05,0x00,0x0b,0xd7,0xf0,0xfa,0x00,0x02]

v_min_u16 v5, src_scc, vcc_lo
// GFX13: v_min_u16 v5, src_scc, vcc_lo           ; encoding: [0x05,0x00,0x0b,0xd7,0xfd,0xd4,0x00,0x02]

v_min_u16 v255, 0xfe0b, vcc_hi
// GFX13: v_min_u16 v255, 0xfe0b, vcc_hi          ; encoding: [0xff,0x00,0x0b,0xd7,0xff,0xd6,0x00,0x02,0x0b,0xfe,0x00,0x00]

v_minmax_num_f16 v5, v1, v2, s3
// GFX13: v_minmax_num_f16 v5, v1, v2, s3         ; encoding: [0x05,0x00,0x6a,0xd6,0x01,0x05,0x0e,0x00]

v_minmax_num_f16 v5, v255, s2, s105
// GFX13: v_minmax_num_f16 v5, v255, s2, s105     ; encoding: [0x05,0x00,0x6a,0xd6,0xff,0x05,0xa4,0x01]

v_minmax_num_f16 v5, s1, v255, exec_hi
// GFX13: v_minmax_num_f16 v5, s1, v255, exec_hi  ; encoding: [0x05,0x00,0x6a,0xd6,0x01,0xfe,0xff,0x01]

v_minmax_num_f16 v5, s105, s105, exec_lo
// GFX13: v_minmax_num_f16 v5, s105, s105, exec_lo ; encoding: [0x05,0x00,0x6a,0xd6,0x69,0xd2,0xf8,0x01]

v_minmax_num_f16 v5, vcc_lo, ttmp15, v3
// GFX13: v_minmax_num_f16 v5, vcc_lo, ttmp15, v3 ; encoding: [0x05,0x00,0x6a,0xd6,0x6a,0xf6,0x0c,0x04]

v_minmax_num_f16 v5, vcc_hi, 0xfe0b, v255
// GFX13: v_minmax_num_f16 v5, vcc_hi, 0xfe0b, v255 ; encoding: [0x05,0x00,0x6a,0xd6,0x6b,0xfe,0xfd,0x07,0x0b,0xfe,0x00,0x00]

v_minmax_num_f16 v5, -|ttmp15|, -|src_scc|, -|ttmp15|
// GFX13: v_minmax_num_f16 v5, -|ttmp15|, -|src_scc|, -|ttmp15| ; encoding: [0x05,0x07,0x6a,0xd6,0x7b,0xfa,0xed,0xe1]

v_minmax_num_f16 v5, m0, 0.5, m0
// GFX13: v_minmax_num_f16 v5, m0, 0.5, m0        ; encoding: [0x05,0x00,0x6a,0xd6,0x7d,0xe0,0xf5,0x01]

v_minmax_num_f16 v5, |exec_lo|, -1, vcc_hi
// GFX13: v_minmax_num_f16 v5, |exec_lo|, -1, vcc_hi ; encoding: [0x05,0x01,0x6a,0xd6,0x7e,0x82,0xad,0x01]

v_minmax_num_f16 v5, -|exec_hi|, null, -|vcc_lo|
// GFX13: v_minmax_num_f16 v5, -|exec_hi|, null, -|vcc_lo| ; encoding: [0x05,0x05,0x6a,0xd6,0x7f,0xf8,0xa8,0xa1]

v_minmax_num_f16 v5, null, exec_lo, -|0xfe0b|
// GFX13: v_minmax_num_f16 v5, null, exec_lo, -|0xfe0b| ; encoding: [0x05,0x04,0x6a,0xd6,0x7c,0xfc,0xfc,0x83,0x0b,0xfe,0x00,0x00]

v_minmax_num_f16 v5, -1, -|exec_hi|, -|src_scc|
// GFX13: v_minmax_num_f16 v5, -1, -|exec_hi|, -|src_scc| ; encoding: [0x05,0x06,0x6a,0xd6,0xc1,0xfe,0xf4,0xc3]

v_minmax_num_f16 v5, 0.5, -m0, 0.5 mul:2
// GFX13: v_minmax_num_f16 v5, 0.5, -m0, 0.5 mul:2 ; encoding: [0x05,0x00,0x6a,0xd6,0xf0,0xfa,0xc0,0x4b]

v_minmax_num_f16 v5, -src_scc, |vcc_lo|, -1 mul:4
// GFX13: v_minmax_num_f16 v5, -src_scc, |vcc_lo|, -1 mul:4 ; encoding: [0x05,0x02,0x6a,0xd6,0xfd,0xd4,0x04,0x33]

v_minmax_num_f16 v255, -|0xfe0b|, -|vcc_hi|, null clamp div:2
// GFX13: v_minmax_num_f16 v255, -|0xfe0b|, -|vcc_hi|, null clamp div:2 ; encoding: [0xff,0x83,0x6a,0xd6,0xff,0xd6,0xf0,0x79,0x0b,0xfe,0x00,0x00]

v_minmax_num_f32 v5, v1, v2, s3
// GFX13: v_minmax_num_f32 v5, v1, v2, s3         ; encoding: [0x05,0x00,0x68,0xd6,0x01,0x05,0x0e,0x00]

v_minmax_num_f32 v5, v255, s2, s105
// GFX13: v_minmax_num_f32 v5, v255, s2, s105     ; encoding: [0x05,0x00,0x68,0xd6,0xff,0x05,0xa4,0x01]

v_minmax_num_f32 v5, s1, v255, exec_hi
// GFX13: v_minmax_num_f32 v5, s1, v255, exec_hi  ; encoding: [0x05,0x00,0x68,0xd6,0x01,0xfe,0xff,0x01]

v_minmax_num_f32 v5, s105, s105, exec_lo
// GFX13: v_minmax_num_f32 v5, s105, s105, exec_lo ; encoding: [0x05,0x00,0x68,0xd6,0x69,0xd2,0xf8,0x01]

v_minmax_num_f32 v5, vcc_lo, ttmp15, v3
// GFX13: v_minmax_num_f32 v5, vcc_lo, ttmp15, v3 ; encoding: [0x05,0x00,0x68,0xd6,0x6a,0xf6,0x0c,0x04]

v_minmax_num_f32 v5, vcc_hi, 0xaf123456, v255
// GFX13: v_minmax_num_f32 v5, vcc_hi, 0xaf123456, v255 ; encoding: [0x05,0x00,0x68,0xd6,0x6b,0xfe,0xfd,0x07,0x56,0x34,0x12,0xaf]

v_minmax_num_f32 v5, -|ttmp15|, -|src_scc|, -|ttmp15|
// GFX13: v_minmax_num_f32 v5, -|ttmp15|, -|src_scc|, -|ttmp15| ; encoding: [0x05,0x07,0x68,0xd6,0x7b,0xfa,0xed,0xe1]

v_minmax_num_f32 v5, m0, 0.5, m0
// GFX13: v_minmax_num_f32 v5, m0, 0.5, m0        ; encoding: [0x05,0x00,0x68,0xd6,0x7d,0xe0,0xf5,0x01]

v_minmax_num_f32 v5, |exec_lo|, -1, vcc_hi
// GFX13: v_minmax_num_f32 v5, |exec_lo|, -1, vcc_hi ; encoding: [0x05,0x01,0x68,0xd6,0x7e,0x82,0xad,0x01]

v_minmax_num_f32 v5, -|exec_hi|, null, -|vcc_lo|
// GFX13: v_minmax_num_f32 v5, -|exec_hi|, null, -|vcc_lo| ; encoding: [0x05,0x05,0x68,0xd6,0x7f,0xf8,0xa8,0xa1]

v_minmax_num_f32 v5, null, exec_lo, -|0xaf123456|
// GFX13: v_minmax_num_f32 v5, null, exec_lo, -|0xaf123456| ; encoding: [0x05,0x04,0x68,0xd6,0x7c,0xfc,0xfc,0x83,0x56,0x34,0x12,0xaf]

v_minmax_num_f32 v5, -1, -|exec_hi|, -|src_scc|
// GFX13: v_minmax_num_f32 v5, -1, -|exec_hi|, -|src_scc| ; encoding: [0x05,0x06,0x68,0xd6,0xc1,0xfe,0xf4,0xc3]

v_minmax_num_f32 v5, 0.5, -m0, 0.5 mul:2
// GFX13: v_minmax_num_f32 v5, 0.5, -m0, 0.5 mul:2 ; encoding: [0x05,0x00,0x68,0xd6,0xf0,0xfa,0xc0,0x4b]

v_minmax_num_f32 v5, -src_scc, |vcc_lo|, -1 mul:4
// GFX13: v_minmax_num_f32 v5, -src_scc, |vcc_lo|, -1 mul:4 ; encoding: [0x05,0x02,0x68,0xd6,0xfd,0xd4,0x04,0x33]

v_minmax_num_f32 v255, -|0xaf123456|, -|vcc_hi|, null clamp div:2
// GFX13: v_minmax_num_f32 v255, -|0xaf123456|, -|vcc_hi|, null clamp div:2 ; encoding: [0xff,0x83,0x68,0xd6,0xff,0xd6,0xf0,0x79,0x56,0x34,0x12,0xaf]

v_minmax_i32 v5, v1, v2, s3
// GFX13: v_minmax_i32 v5, v1, v2, s3             ; encoding: [0x05,0x00,0x65,0xd6,0x01,0x05,0x0e,0x00]

v_minmax_i32 v5, v255, s2, s105
// GFX13: v_minmax_i32 v5, v255, s2, s105         ; encoding: [0x05,0x00,0x65,0xd6,0xff,0x05,0xa4,0x01]

v_minmax_i32 v5, s1, v255, exec_hi
// GFX13: v_minmax_i32 v5, s1, v255, exec_hi      ; encoding: [0x05,0x00,0x65,0xd6,0x01,0xfe,0xff,0x01]

v_minmax_i32 v5, s105, s105, exec_lo
// GFX13: v_minmax_i32 v5, s105, s105, exec_lo    ; encoding: [0x05,0x00,0x65,0xd6,0x69,0xd2,0xf8,0x01]

v_minmax_i32 v5, vcc_lo, ttmp15, v3
// GFX13: v_minmax_i32 v5, vcc_lo, ttmp15, v3     ; encoding: [0x05,0x00,0x65,0xd6,0x6a,0xf6,0x0c,0x04]

v_minmax_i32 v5, vcc_hi, 0xaf123456, v255
// GFX13: v_minmax_i32 v5, vcc_hi, 0xaf123456, v255 ; encoding: [0x05,0x00,0x65,0xd6,0x6b,0xfe,0xfd,0x07,0x56,0x34,0x12,0xaf]

v_minmax_i32 v5, ttmp15, src_scc, ttmp15
// GFX13: v_minmax_i32 v5, ttmp15, src_scc, ttmp15 ; encoding: [0x05,0x00,0x65,0xd6,0x7b,0xfa,0xed,0x01]

v_minmax_i32 v5, m0, 0.5, m0
// GFX13: v_minmax_i32 v5, m0, 0.5, m0            ; encoding: [0x05,0x00,0x65,0xd6,0x7d,0xe0,0xf5,0x01]

v_minmax_i32 v5, exec_lo, -1, vcc_hi
// GFX13: v_minmax_i32 v5, exec_lo, -1, vcc_hi    ; encoding: [0x05,0x00,0x65,0xd6,0x7e,0x82,0xad,0x01]

v_minmax_i32 v5, exec_hi, null, vcc_lo
// GFX13: v_minmax_i32 v5, exec_hi, null, vcc_lo  ; encoding: [0x05,0x00,0x65,0xd6,0x7f,0xf8,0xa8,0x01]

v_minmax_i32 v5, null, exec_lo, 0xaf123456
// GFX13: v_minmax_i32 v5, null, exec_lo, 0xaf123456 ; encoding: [0x05,0x00,0x65,0xd6,0x7c,0xfc,0xfc,0x03,0x56,0x34,0x12,0xaf]

v_minmax_i32 v5, -1, exec_hi, src_scc
// GFX13: v_minmax_i32 v5, -1, exec_hi, src_scc   ; encoding: [0x05,0x00,0x65,0xd6,0xc1,0xfe,0xf4,0x03]

v_minmax_i32 v5, 0.5, m0, 0.5
// GFX13: v_minmax_i32 v5, 0.5, m0, 0.5           ; encoding: [0x05,0x00,0x65,0xd6,0xf0,0xfa,0xc0,0x03]

v_minmax_i32 v5, src_scc, vcc_lo, -1
// GFX13: v_minmax_i32 v5, src_scc, vcc_lo, -1    ; encoding: [0x05,0x00,0x65,0xd6,0xfd,0xd4,0x04,0x03]

v_minmax_i32 v255, 0xaf123456, vcc_hi, null
// GFX13: v_minmax_i32 v255, 0xaf123456, vcc_hi, null ; encoding: [0xff,0x00,0x65,0xd6,0xff,0xd6,0xf0,0x01,0x56,0x34,0x12,0xaf]

v_minmax_u32 v5, v1, v2, s3
// GFX13: v_minmax_u32 v5, v1, v2, s3             ; encoding: [0x05,0x00,0x63,0xd6,0x01,0x05,0x0e,0x00]

v_minmax_u32 v5, v255, s2, s105
// GFX13: v_minmax_u32 v5, v255, s2, s105         ; encoding: [0x05,0x00,0x63,0xd6,0xff,0x05,0xa4,0x01]

v_minmax_u32 v5, s1, v255, exec_hi
// GFX13: v_minmax_u32 v5, s1, v255, exec_hi      ; encoding: [0x05,0x00,0x63,0xd6,0x01,0xfe,0xff,0x01]

v_minmax_u32 v5, s105, s105, exec_lo
// GFX13: v_minmax_u32 v5, s105, s105, exec_lo    ; encoding: [0x05,0x00,0x63,0xd6,0x69,0xd2,0xf8,0x01]

v_minmax_u32 v5, vcc_lo, ttmp15, v3
// GFX13: v_minmax_u32 v5, vcc_lo, ttmp15, v3     ; encoding: [0x05,0x00,0x63,0xd6,0x6a,0xf6,0x0c,0x04]

v_minmax_u32 v5, vcc_hi, 0xaf123456, v255
// GFX13: v_minmax_u32 v5, vcc_hi, 0xaf123456, v255 ; encoding: [0x05,0x00,0x63,0xd6,0x6b,0xfe,0xfd,0x07,0x56,0x34,0x12,0xaf]

v_minmax_u32 v5, ttmp15, src_scc, ttmp15
// GFX13: v_minmax_u32 v5, ttmp15, src_scc, ttmp15 ; encoding: [0x05,0x00,0x63,0xd6,0x7b,0xfa,0xed,0x01]

v_minmax_u32 v5, m0, 0.5, m0
// GFX13: v_minmax_u32 v5, m0, 0.5, m0            ; encoding: [0x05,0x00,0x63,0xd6,0x7d,0xe0,0xf5,0x01]

v_minmax_u32 v5, exec_lo, -1, vcc_hi
// GFX13: v_minmax_u32 v5, exec_lo, -1, vcc_hi    ; encoding: [0x05,0x00,0x63,0xd6,0x7e,0x82,0xad,0x01]

v_minmax_u32 v5, exec_hi, null, vcc_lo
// GFX13: v_minmax_u32 v5, exec_hi, null, vcc_lo  ; encoding: [0x05,0x00,0x63,0xd6,0x7f,0xf8,0xa8,0x01]

v_minmax_u32 v5, null, exec_lo, 0xaf123456
// GFX13: v_minmax_u32 v5, null, exec_lo, 0xaf123456 ; encoding: [0x05,0x00,0x63,0xd6,0x7c,0xfc,0xfc,0x03,0x56,0x34,0x12,0xaf]

v_minmax_u32 v5, -1, exec_hi, src_scc
// GFX13: v_minmax_u32 v5, -1, exec_hi, src_scc   ; encoding: [0x05,0x00,0x63,0xd6,0xc1,0xfe,0xf4,0x03]

v_minmax_u32 v5, 0.5, m0, 0.5
// GFX13: v_minmax_u32 v5, 0.5, m0, 0.5           ; encoding: [0x05,0x00,0x63,0xd6,0xf0,0xfa,0xc0,0x03]

v_minmax_u32 v5, src_scc, vcc_lo, -1
// GFX13: v_minmax_u32 v5, src_scc, vcc_lo, -1    ; encoding: [0x05,0x00,0x63,0xd6,0xfd,0xd4,0x04,0x03]

v_minmax_u32 v255, 0xaf123456, vcc_hi, null
// GFX13: v_minmax_u32 v255, 0xaf123456, vcc_hi, null ; encoding: [0xff,0x00,0x63,0xd6,0xff,0xd6,0xf0,0x01,0x56,0x34,0x12,0xaf]

v_mqsad_pk_u16_u8 v[5:6], v[1:2], v2, ttmp[14:15]
// GFX13: v_mqsad_pk_u16_u8 v[5:6], v[1:2], v2, ttmp[14:15] ; encoding: [0x05,0x00,0x3b,0xd6,0x01,0x05,0xea,0x01]

v_mqsad_pk_u16_u8 v[5:6], v[1:2], v255, ttmp[14:15]
// GFX13: v_mqsad_pk_u16_u8 v[5:6], v[1:2], v255, ttmp[14:15] ; encoding: [0x05,0x00,0x3b,0xd6,0x01,0xff,0xeb,0x01]

v_mqsad_pk_u16_u8 v[5:6], v[1:2], s2, ttmp[14:15]
// GFX13: v_mqsad_pk_u16_u8 v[5:6], v[1:2], s2, ttmp[14:15] ; encoding: [0x05,0x00,0x3b,0xd6,0x01,0x05,0xe8,0x01]

v_mqsad_pk_u16_u8 v[5:6], v[1:2], s105, ttmp[14:15]
// GFX13: v_mqsad_pk_u16_u8 v[5:6], v[1:2], s105, ttmp[14:15] ; encoding: [0x05,0x00,0x3b,0xd6,0x01,0xd3,0xe8,0x01]

v_mqsad_pk_u16_u8 v[5:6], v[254:255], ttmp15, s[6:7]
// GFX13: v_mqsad_pk_u16_u8 v[5:6], v[254:255], ttmp15, s[6:7] ; encoding: [0x05,0x00,0x3b,0xd6,0xfe,0xf7,0x18,0x00]

v_mqsad_pk_u16_u8 v[5:6], s[2:3], vcc_hi, v[3:4]
// GFX13: v_mqsad_pk_u16_u8 v[5:6], s[2:3], vcc_hi, v[3:4] ; encoding: [0x05,0x00,0x3b,0xd6,0x02,0xd6,0x0c,0x04]

v_mqsad_pk_u16_u8 v[5:6], s[104:105], vcc_lo, s[104:105]
// GFX13: v_mqsad_pk_u16_u8 v[5:6], s[104:105], vcc_lo, s[104:105] ; encoding: [0x05,0x00,0x3b,0xd6,0x68,0xd4,0xa0,0x01]

v_mqsad_pk_u16_u8 v[5:6], vcc, m0, v[254:255]
// GFX13: v_mqsad_pk_u16_u8 v[5:6], vcc, m0, v[254:255] ; encoding: [0x05,0x00,0x3b,0xd6,0x6a,0xfa,0xf8,0x07]

v_mqsad_pk_u16_u8 v[5:6], ttmp[14:15], exec_hi, null
// GFX13: v_mqsad_pk_u16_u8 v[5:6], ttmp[14:15], exec_hi, null ; encoding: [0x05,0x00,0x3b,0xd6,0x7a,0xfe,0xf0,0x01]

v_mqsad_pk_u16_u8 v[5:6], exec, exec_lo, exec
// GFX13: v_mqsad_pk_u16_u8 v[5:6], exec, exec_lo, exec ; encoding: [0x05,0x00,0x3b,0xd6,0x7e,0xfc,0xf8,0x01]

v_mqsad_pk_u16_u8 v[5:6], null, null, vcc
// GFX13: v_mqsad_pk_u16_u8 v[5:6], null, null, vcc ; encoding: [0x05,0x00,0x3b,0xd6,0x7c,0xf8,0xa8,0x01]

v_mqsad_pk_u16_u8 v[5:6], -1, -1, 0xaf123456
// GFX13: v_mqsad_pk_u16_u8 v[5:6], -1, -1, 0xaf123456 ; encoding: [0x05,0x00,0x3b,0xd6,0xc1,0x82,0xfd,0x03,0x56,0x34,0x12,0xaf]

v_mqsad_pk_u16_u8 v[5:6], 0.5, 0.5, src_scc
// GFX13: v_mqsad_pk_u16_u8 v[5:6], 0.5, 0.5, src_scc ; encoding: [0x05,0x00,0x3b,0xd6,0xf0,0xe0,0xf5,0x03]

v_mqsad_pk_u16_u8 v[5:6], src_scc, src_scc, 0.5
// GFX13: v_mqsad_pk_u16_u8 v[5:6], src_scc, src_scc, 0.5 ; encoding: [0x05,0x00,0x3b,0xd6,0xfd,0xfa,0xc1,0x03]

v_mqsad_pk_u16_u8 v[254:255], 0xaf123456, 0xaf123456, -1 clamp
// GFX13: v_mqsad_pk_u16_u8 v[254:255], 0xaf123456, 0xaf123456, -1 clamp ; encoding: [0xfe,0x80,0x3b,0xd6,0xff,0xfe,0x05,0x03,0x56,0x34,0x12,0xaf]

v_mqsad_u32_u8 v[5:8], v[1:2], v2, v[252:255]
// GFX13: v_mqsad_u32_u8 v[5:8], v[1:2], v2, v[252:255] ; encoding: [0x05,0x00,0x3d,0xd6,0x01,0x05,0xf2,0x07]

v_mqsad_u32_u8 v[5:8], v[1:2], v255, v[252:255]
// GFX13: v_mqsad_u32_u8 v[5:8], v[1:2], v255, v[252:255] ; encoding: [0x05,0x00,0x3d,0xd6,0x01,0xff,0xf3,0x07]
	;; [unrolled: 3-line block ×4, first 2 shown]

v_mqsad_u32_u8 v[5:8], v[254:255], ttmp15, v[252:255]
// GFX13: v_mqsad_u32_u8 v[5:8], v[254:255], ttmp15, v[252:255] ; encoding: [0x05,0x00,0x3d,0xd6,0xfe,0xf7,0xf0,0x07]

v_mqsad_u32_u8 v[5:8], s[2:3], vcc_hi, v[252:255]
// GFX13: v_mqsad_u32_u8 v[5:8], s[2:3], vcc_hi, v[252:255] ; encoding: [0x05,0x00,0x3d,0xd6,0x02,0xd6,0xf0,0x07]

v_mqsad_u32_u8 v[5:8], s[104:105], vcc_lo, v[252:255]
// GFX13: v_mqsad_u32_u8 v[5:8], s[104:105], vcc_lo, v[252:255] ; encoding: [0x05,0x00,0x3d,0xd6,0x68,0xd4,0xf0,0x07]

v_mqsad_u32_u8 v[5:8], vcc, m0, v[252:255]
// GFX13: v_mqsad_u32_u8 v[5:8], vcc, m0, v[252:255] ; encoding: [0x05,0x00,0x3d,0xd6,0x6a,0xfa,0xf0,0x07]

v_mqsad_u32_u8 v[5:8], ttmp[14:15], exec_hi, v[252:255]
// GFX13: v_mqsad_u32_u8 v[5:8], ttmp[14:15], exec_hi, v[252:255] ; encoding: [0x05,0x00,0x3d,0xd6,0x7a,0xfe,0xf0,0x07]

v_mqsad_u32_u8 v[5:8], exec, exec_lo, v[252:255]
// GFX13: v_mqsad_u32_u8 v[5:8], exec, exec_lo, v[252:255] ; encoding: [0x05,0x00,0x3d,0xd6,0x7e,0xfc,0xf0,0x07]

v_mqsad_u32_u8 v[5:8], null, null, v[252:255]
// GFX13: v_mqsad_u32_u8 v[5:8], null, null, v[252:255] ; encoding: [0x05,0x00,0x3d,0xd6,0x7c,0xf8,0xf0,0x07]

v_mqsad_u32_u8 v[5:8], -1, -1, v[252:255]
// GFX13: v_mqsad_u32_u8 v[5:8], -1, -1, v[252:255] ; encoding: [0x05,0x00,0x3d,0xd6,0xc1,0x82,0xf1,0x07]

v_mqsad_u32_u8 v[5:8], 0.5, 0.5, v[252:255]
// GFX13: v_mqsad_u32_u8 v[5:8], 0.5, 0.5, v[252:255] ; encoding: [0x05,0x00,0x3d,0xd6,0xf0,0xe0,0xf1,0x07]

v_mqsad_u32_u8 v[5:8], src_scc, src_scc, v[252:255]
// GFX13: v_mqsad_u32_u8 v[5:8], src_scc, src_scc, v[252:255] ; encoding: [0x05,0x00,0x3d,0xd6,0xfd,0xfa,0xf1,0x07]

v_mqsad_u32_u8 v[252:255], 0xaf123456, 0xaf123456, v[3:6] clamp
// GFX13: v_mqsad_u32_u8 v[252:255], 0xaf123456, 0xaf123456, v[3:6] clamp ; encoding: [0xfc,0x80,0x3d,0xd6,0xff,0xfe,0x0d,0x04,0x56,0x34,0x12,0xaf]

v_msad_u8 v5, v1, v2, s3
// GFX13: v_msad_u8 v5, v1, v2, s3                ; encoding: [0x05,0x00,0x39,0xd6,0x01,0x05,0x0e,0x00]

v_msad_u8 v5, v255, s2, s105
// GFX13: v_msad_u8 v5, v255, s2, s105            ; encoding: [0x05,0x00,0x39,0xd6,0xff,0x05,0xa4,0x01]

v_msad_u8 v5, s1, v255, exec_hi
// GFX13: v_msad_u8 v5, s1, v255, exec_hi         ; encoding: [0x05,0x00,0x39,0xd6,0x01,0xfe,0xff,0x01]

v_msad_u8 v5, s105, s105, exec_lo
// GFX13: v_msad_u8 v5, s105, s105, exec_lo       ; encoding: [0x05,0x00,0x39,0xd6,0x69,0xd2,0xf8,0x01]

v_msad_u8 v5, vcc_lo, ttmp15, v3
// GFX13: v_msad_u8 v5, vcc_lo, ttmp15, v3        ; encoding: [0x05,0x00,0x39,0xd6,0x6a,0xf6,0x0c,0x04]

v_msad_u8 v5, vcc_hi, 0xaf123456, v255
// GFX13: v_msad_u8 v5, vcc_hi, 0xaf123456, v255  ; encoding: [0x05,0x00,0x39,0xd6,0x6b,0xfe,0xfd,0x07,0x56,0x34,0x12,0xaf]

v_msad_u8 v5, ttmp15, src_scc, ttmp15
// GFX13: v_msad_u8 v5, ttmp15, src_scc, ttmp15   ; encoding: [0x05,0x00,0x39,0xd6,0x7b,0xfa,0xed,0x01]

v_msad_u8 v5, m0, 0.5, m0
// GFX13: v_msad_u8 v5, m0, 0.5, m0               ; encoding: [0x05,0x00,0x39,0xd6,0x7d,0xe0,0xf5,0x01]

v_msad_u8 v5, exec_lo, -1, vcc_hi
// GFX13: v_msad_u8 v5, exec_lo, -1, vcc_hi       ; encoding: [0x05,0x00,0x39,0xd6,0x7e,0x82,0xad,0x01]

v_msad_u8 v5, exec_hi, null, vcc_lo
// GFX13: v_msad_u8 v5, exec_hi, null, vcc_lo     ; encoding: [0x05,0x00,0x39,0xd6,0x7f,0xf8,0xa8,0x01]

v_msad_u8 v5, null, exec_lo, 0xaf123456
// GFX13: v_msad_u8 v5, null, exec_lo, 0xaf123456 ; encoding: [0x05,0x00,0x39,0xd6,0x7c,0xfc,0xfc,0x03,0x56,0x34,0x12,0xaf]

v_msad_u8 v5, -1, exec_hi, src_scc
// GFX13: v_msad_u8 v5, -1, exec_hi, src_scc      ; encoding: [0x05,0x00,0x39,0xd6,0xc1,0xfe,0xf4,0x03]

v_msad_u8 v5, 0.5, m0, 0.5
// GFX13: v_msad_u8 v5, 0.5, m0, 0.5              ; encoding: [0x05,0x00,0x39,0xd6,0xf0,0xfa,0xc0,0x03]

v_msad_u8 v5, src_scc, vcc_lo, -1
// GFX13: v_msad_u8 v5, src_scc, vcc_lo, -1       ; encoding: [0x05,0x00,0x39,0xd6,0xfd,0xd4,0x04,0x03]

v_msad_u8 v255, 0xaf123456, vcc_hi, null clamp
// GFX13: v_msad_u8 v255, 0xaf123456, vcc_hi, null clamp ; encoding: [0xff,0x80,0x39,0xd6,0xff,0xd6,0xf0,0x01,0x56,0x34,0x12,0xaf]

v_mul_hi_i32 v5, v1, v2
// GFX13: v_mul_hi_i32 v5, v1, v2                 ; encoding: [0x05,0x00,0x2e,0xd7,0x01,0x05,0x02,0x02]

v_mul_hi_i32 v5, v255, v255
// GFX13: v_mul_hi_i32 v5, v255, v255             ; encoding: [0x05,0x00,0x2e,0xd7,0xff,0xff,0x03,0x02]

v_mul_hi_i32 v5, s1, s2
// GFX13: v_mul_hi_i32 v5, s1, s2                 ; encoding: [0x05,0x00,0x2e,0xd7,0x01,0x04,0x00,0x02]

v_mul_hi_i32 v5, s105, s105
// GFX13: v_mul_hi_i32 v5, s105, s105             ; encoding: [0x05,0x00,0x2e,0xd7,0x69,0xd2,0x00,0x02]

v_mul_hi_i32 v5, vcc_lo, ttmp15
// GFX13: v_mul_hi_i32 v5, vcc_lo, ttmp15         ; encoding: [0x05,0x00,0x2e,0xd7,0x6a,0xf6,0x00,0x02]

v_mul_hi_i32 v5, vcc_hi, 0xaf123456
// GFX13: v_mul_hi_i32 v5, vcc_hi, 0xaf123456     ; encoding: [0x05,0x00,0x2e,0xd7,0x6b,0xfe,0x01,0x02,0x56,0x34,0x12,0xaf]

v_mul_hi_i32 v5, ttmp15, src_scc
// GFX13: v_mul_hi_i32 v5, ttmp15, src_scc        ; encoding: [0x05,0x00,0x2e,0xd7,0x7b,0xfa,0x01,0x02]

v_mul_hi_i32 v5, m0, 0.5
// GFX13: v_mul_hi_i32 v5, m0, 0.5                ; encoding: [0x05,0x00,0x2e,0xd7,0x7d,0xe0,0x01,0x02]

v_mul_hi_i32 v5, exec_lo, -1
// GFX13: v_mul_hi_i32 v5, exec_lo, -1            ; encoding: [0x05,0x00,0x2e,0xd7,0x7e,0x82,0x01,0x02]

v_mul_hi_i32 v5, exec_hi, null
// GFX13: v_mul_hi_i32 v5, exec_hi, null          ; encoding: [0x05,0x00,0x2e,0xd7,0x7f,0xf8,0x00,0x02]

v_mul_hi_i32 v5, null, exec_lo
// GFX13: v_mul_hi_i32 v5, null, exec_lo          ; encoding: [0x05,0x00,0x2e,0xd7,0x7c,0xfc,0x00,0x02]

v_mul_hi_i32 v5, -1, exec_hi
// GFX13: v_mul_hi_i32 v5, -1, exec_hi            ; encoding: [0x05,0x00,0x2e,0xd7,0xc1,0xfe,0x00,0x02]

v_mul_hi_i32 v5, 0.5, m0
// GFX13: v_mul_hi_i32 v5, 0.5, m0                ; encoding: [0x05,0x00,0x2e,0xd7,0xf0,0xfa,0x00,0x02]

v_mul_hi_i32 v5, src_scc, vcc_lo
// GFX13: v_mul_hi_i32 v5, src_scc, vcc_lo        ; encoding: [0x05,0x00,0x2e,0xd7,0xfd,0xd4,0x00,0x02]

v_mul_hi_i32 v255, 0xaf123456, vcc_hi
// GFX13: v_mul_hi_i32 v255, 0xaf123456, vcc_hi   ; encoding: [0xff,0x00,0x2e,0xd7,0xff,0xd6,0x00,0x02,0x56,0x34,0x12,0xaf]

v_mul_hi_u32 v5, v1, v2
// GFX13: v_mul_hi_u32 v5, v1, v2                 ; encoding: [0x05,0x00,0x2d,0xd7,0x01,0x05,0x02,0x02]

v_mul_hi_u32 v5, v255, v255
// GFX13: v_mul_hi_u32 v5, v255, v255             ; encoding: [0x05,0x00,0x2d,0xd7,0xff,0xff,0x03,0x02]

v_mul_hi_u32 v5, s1, s2
// GFX13: v_mul_hi_u32 v5, s1, s2                 ; encoding: [0x05,0x00,0x2d,0xd7,0x01,0x04,0x00,0x02]

v_mul_hi_u32 v5, s105, s105
// GFX13: v_mul_hi_u32 v5, s105, s105             ; encoding: [0x05,0x00,0x2d,0xd7,0x69,0xd2,0x00,0x02]

v_mul_hi_u32 v5, vcc_lo, ttmp15
// GFX13: v_mul_hi_u32 v5, vcc_lo, ttmp15         ; encoding: [0x05,0x00,0x2d,0xd7,0x6a,0xf6,0x00,0x02]

v_mul_hi_u32 v5, vcc_hi, 0xaf123456
// GFX13: v_mul_hi_u32 v5, vcc_hi, 0xaf123456     ; encoding: [0x05,0x00,0x2d,0xd7,0x6b,0xfe,0x01,0x02,0x56,0x34,0x12,0xaf]

v_mul_hi_u32 v5, ttmp15, src_scc
// GFX13: v_mul_hi_u32 v5, ttmp15, src_scc        ; encoding: [0x05,0x00,0x2d,0xd7,0x7b,0xfa,0x01,0x02]

v_mul_hi_u32 v5, m0, 0.5
// GFX13: v_mul_hi_u32 v5, m0, 0.5                ; encoding: [0x05,0x00,0x2d,0xd7,0x7d,0xe0,0x01,0x02]

v_mul_hi_u32 v5, exec_lo, -1
// GFX13: v_mul_hi_u32 v5, exec_lo, -1            ; encoding: [0x05,0x00,0x2d,0xd7,0x7e,0x82,0x01,0x02]

v_mul_hi_u32 v5, exec_hi, null
// GFX13: v_mul_hi_u32 v5, exec_hi, null          ; encoding: [0x05,0x00,0x2d,0xd7,0x7f,0xf8,0x00,0x02]

v_mul_hi_u32 v5, null, exec_lo
// GFX13: v_mul_hi_u32 v5, null, exec_lo          ; encoding: [0x05,0x00,0x2d,0xd7,0x7c,0xfc,0x00,0x02]

v_mul_hi_u32 v5, -1, exec_hi
// GFX13: v_mul_hi_u32 v5, -1, exec_hi            ; encoding: [0x05,0x00,0x2d,0xd7,0xc1,0xfe,0x00,0x02]

v_mul_hi_u32 v5, 0.5, m0
// GFX13: v_mul_hi_u32 v5, 0.5, m0                ; encoding: [0x05,0x00,0x2d,0xd7,0xf0,0xfa,0x00,0x02]

v_mul_hi_u32 v5, src_scc, vcc_lo
// GFX13: v_mul_hi_u32 v5, src_scc, vcc_lo        ; encoding: [0x05,0x00,0x2d,0xd7,0xfd,0xd4,0x00,0x02]

v_mul_hi_u32 v255, 0xaf123456, vcc_hi
// GFX13: v_mul_hi_u32 v255, 0xaf123456, vcc_hi   ; encoding: [0xff,0x00,0x2d,0xd7,0xff,0xd6,0x00,0x02,0x56,0x34,0x12,0xaf]

v_mul_lo_u16 v5, v1, v2
// GFX13: v_mul_lo_u16 v5, v1, v2                 ; encoding: [0x05,0x00,0x05,0xd7,0x01,0x05,0x02,0x02]

v_mul_lo_u16 v5, v255, v255
// GFX13: v_mul_lo_u16 v5, v255, v255             ; encoding: [0x05,0x00,0x05,0xd7,0xff,0xff,0x03,0x02]

v_mul_lo_u16 v5, s1, s2
// GFX13: v_mul_lo_u16 v5, s1, s2                 ; encoding: [0x05,0x00,0x05,0xd7,0x01,0x04,0x00,0x02]

v_mul_lo_u16 v5, s105, s105
// GFX13: v_mul_lo_u16 v5, s105, s105             ; encoding: [0x05,0x00,0x05,0xd7,0x69,0xd2,0x00,0x02]

v_mul_lo_u16 v5, vcc_lo, ttmp15
// GFX13: v_mul_lo_u16 v5, vcc_lo, ttmp15         ; encoding: [0x05,0x00,0x05,0xd7,0x6a,0xf6,0x00,0x02]

v_mul_lo_u16 v5, vcc_hi, 0xfe0b
// GFX13: v_mul_lo_u16 v5, vcc_hi, 0xfe0b         ; encoding: [0x05,0x00,0x05,0xd7,0x6b,0xfe,0x01,0x02,0x0b,0xfe,0x00,0x00]

v_mul_lo_u16 v5, ttmp15, src_scc
// GFX13: v_mul_lo_u16 v5, ttmp15, src_scc        ; encoding: [0x05,0x00,0x05,0xd7,0x7b,0xfa,0x01,0x02]

v_mul_lo_u16 v5, m0, 0.5
// GFX13: v_mul_lo_u16 v5, m0, 0.5                ; encoding: [0x05,0x00,0x05,0xd7,0x7d,0xe0,0x01,0x02]

v_mul_lo_u16 v5, exec_lo, -1
// GFX13: v_mul_lo_u16 v5, exec_lo, -1            ; encoding: [0x05,0x00,0x05,0xd7,0x7e,0x82,0x01,0x02]

v_mul_lo_u16 v5, exec_hi, null
// GFX13: v_mul_lo_u16 v5, exec_hi, null          ; encoding: [0x05,0x00,0x05,0xd7,0x7f,0xf8,0x00,0x02]

v_mul_lo_u16 v5, null, exec_lo
// GFX13: v_mul_lo_u16 v5, null, exec_lo          ; encoding: [0x05,0x00,0x05,0xd7,0x7c,0xfc,0x00,0x02]

v_mul_lo_u16 v5, -1, exec_hi
// GFX13: v_mul_lo_u16 v5, -1, exec_hi            ; encoding: [0x05,0x00,0x05,0xd7,0xc1,0xfe,0x00,0x02]

v_mul_lo_u16 v5, 0.5, m0
// GFX13: v_mul_lo_u16 v5, 0.5, m0                ; encoding: [0x05,0x00,0x05,0xd7,0xf0,0xfa,0x00,0x02]

v_mul_lo_u16 v5, src_scc, vcc_lo
// GFX13: v_mul_lo_u16 v5, src_scc, vcc_lo        ; encoding: [0x05,0x00,0x05,0xd7,0xfd,0xd4,0x00,0x02]

v_mul_lo_u16 v255, 0xfe0b, vcc_hi
// GFX13: v_mul_lo_u16 v255, 0xfe0b, vcc_hi       ; encoding: [0xff,0x00,0x05,0xd7,0xff,0xd6,0x00,0x02,0x0b,0xfe,0x00,0x00]

v_mul_lo_u32 v5, v1, v2
// GFX13: v_mul_lo_u32 v5, v1, v2                 ; encoding: [0x05,0x00,0x2c,0xd7,0x01,0x05,0x02,0x02]

v_mul_lo_u32 v5, v255, v255
// GFX13: v_mul_lo_u32 v5, v255, v255             ; encoding: [0x05,0x00,0x2c,0xd7,0xff,0xff,0x03,0x02]

v_mul_lo_u32 v5, s1, s2
// GFX13: v_mul_lo_u32 v5, s1, s2                 ; encoding: [0x05,0x00,0x2c,0xd7,0x01,0x04,0x00,0x02]

v_mul_lo_u32 v5, s105, s105
// GFX13: v_mul_lo_u32 v5, s105, s105             ; encoding: [0x05,0x00,0x2c,0xd7,0x69,0xd2,0x00,0x02]

v_mul_lo_u32 v5, vcc_lo, ttmp15
// GFX13: v_mul_lo_u32 v5, vcc_lo, ttmp15         ; encoding: [0x05,0x00,0x2c,0xd7,0x6a,0xf6,0x00,0x02]

v_mul_lo_u32 v5, vcc_hi, 0xaf123456
// GFX13: v_mul_lo_u32 v5, vcc_hi, 0xaf123456     ; encoding: [0x05,0x00,0x2c,0xd7,0x6b,0xfe,0x01,0x02,0x56,0x34,0x12,0xaf]

v_mul_lo_u32 v5, ttmp15, src_scc
// GFX13: v_mul_lo_u32 v5, ttmp15, src_scc        ; encoding: [0x05,0x00,0x2c,0xd7,0x7b,0xfa,0x01,0x02]

v_mul_lo_u32 v5, m0, 0.5
// GFX13: v_mul_lo_u32 v5, m0, 0.5                ; encoding: [0x05,0x00,0x2c,0xd7,0x7d,0xe0,0x01,0x02]

v_mul_lo_u32 v5, exec_lo, -1
// GFX13: v_mul_lo_u32 v5, exec_lo, -1            ; encoding: [0x05,0x00,0x2c,0xd7,0x7e,0x82,0x01,0x02]

v_mul_lo_u32 v5, exec_hi, null
// GFX13: v_mul_lo_u32 v5, exec_hi, null          ; encoding: [0x05,0x00,0x2c,0xd7,0x7f,0xf8,0x00,0x02]

v_mul_lo_u32 v5, null, exec_lo
// GFX13: v_mul_lo_u32 v5, null, exec_lo          ; encoding: [0x05,0x00,0x2c,0xd7,0x7c,0xfc,0x00,0x02]

v_mul_lo_u32 v5, -1, exec_hi
// GFX13: v_mul_lo_u32 v5, -1, exec_hi            ; encoding: [0x05,0x00,0x2c,0xd7,0xc1,0xfe,0x00,0x02]

v_mul_lo_u32 v5, 0.5, m0
// GFX13: v_mul_lo_u32 v5, 0.5, m0                ; encoding: [0x05,0x00,0x2c,0xd7,0xf0,0xfa,0x00,0x02]

v_mul_lo_u32 v5, src_scc, vcc_lo
// GFX13: v_mul_lo_u32 v5, src_scc, vcc_lo        ; encoding: [0x05,0x00,0x2c,0xd7,0xfd,0xd4,0x00,0x02]

v_mul_lo_u32 v255, 0xaf123456, vcc_hi
// GFX13: v_mul_lo_u32 v255, 0xaf123456, vcc_hi   ; encoding: [0xff,0x00,0x2c,0xd7,0xff,0xd6,0x00,0x02,0x56,0x34,0x12,0xaf]

v_mullit_f32 v5, v1, v2, s3
// GFX13: v_mullit_f32 v5, v1, v2, s3             ; encoding: [0x05,0x00,0x18,0xd6,0x01,0x05,0x0e,0x00]

v_mullit_f32 v5, v255, s2, s105
// GFX13: v_mullit_f32 v5, v255, s2, s105         ; encoding: [0x05,0x00,0x18,0xd6,0xff,0x05,0xa4,0x01]

v_mullit_f32 v5, s1, v255, exec_hi
// GFX13: v_mullit_f32 v5, s1, v255, exec_hi      ; encoding: [0x05,0x00,0x18,0xd6,0x01,0xfe,0xff,0x01]

v_mullit_f32 v5, s105, s105, exec_lo
// GFX13: v_mullit_f32 v5, s105, s105, exec_lo    ; encoding: [0x05,0x00,0x18,0xd6,0x69,0xd2,0xf8,0x01]

v_mullit_f32 v5, vcc_lo, ttmp15, v3
// GFX13: v_mullit_f32 v5, vcc_lo, ttmp15, v3     ; encoding: [0x05,0x00,0x18,0xd6,0x6a,0xf6,0x0c,0x04]

v_mullit_f32 v5, vcc_hi, 0xaf123456, v255
// GFX13: v_mullit_f32 v5, vcc_hi, 0xaf123456, v255 ; encoding: [0x05,0x00,0x18,0xd6,0x6b,0xfe,0xfd,0x07,0x56,0x34,0x12,0xaf]

v_mullit_f32 v5, -|ttmp15|, -|src_scc|, -|ttmp15|
// GFX13: v_mullit_f32 v5, -|ttmp15|, -|src_scc|, -|ttmp15| ; encoding: [0x05,0x07,0x18,0xd6,0x7b,0xfa,0xed,0xe1]

v_mullit_f32 v5, m0, 0.5, m0
// GFX13: v_mullit_f32 v5, m0, 0.5, m0            ; encoding: [0x05,0x00,0x18,0xd6,0x7d,0xe0,0xf5,0x01]

v_mullit_f32 v5, |exec_lo|, -1, vcc_hi
// GFX13: v_mullit_f32 v5, |exec_lo|, -1, vcc_hi  ; encoding: [0x05,0x01,0x18,0xd6,0x7e,0x82,0xad,0x01]

v_mullit_f32 v5, -|exec_hi|, null, -|vcc_lo|
// GFX13: v_mullit_f32 v5, -|exec_hi|, null, -|vcc_lo| ; encoding: [0x05,0x05,0x18,0xd6,0x7f,0xf8,0xa8,0xa1]

v_mullit_f32 v5, null, exec_lo, -|0xaf123456|
// GFX13: v_mullit_f32 v5, null, exec_lo, -|0xaf123456| ; encoding: [0x05,0x04,0x18,0xd6,0x7c,0xfc,0xfc,0x83,0x56,0x34,0x12,0xaf]

v_mullit_f32 v5, -1, -|exec_hi|, -|src_scc|
// GFX13: v_mullit_f32 v5, -1, -|exec_hi|, -|src_scc| ; encoding: [0x05,0x06,0x18,0xd6,0xc1,0xfe,0xf4,0xc3]

v_mullit_f32 v5, 0.5, -m0, 0.5 mul:2
// GFX13: v_mullit_f32 v5, 0.5, -m0, 0.5 mul:2    ; encoding: [0x05,0x00,0x18,0xd6,0xf0,0xfa,0xc0,0x4b]

v_mullit_f32 v5, -src_scc, |vcc_lo|, -1 mul:4
// GFX13: v_mullit_f32 v5, -src_scc, |vcc_lo|, -1 mul:4 ; encoding: [0x05,0x02,0x18,0xd6,0xfd,0xd4,0x04,0x33]

v_mullit_f32 v255, -|0xaf123456|, -|vcc_hi|, null clamp div:2
// GFX13: v_mullit_f32 v255, -|0xaf123456|, -|vcc_hi|, null clamp div:2 ; encoding: [0xff,0x83,0x18,0xd6,0xff,0xd6,0xf0,0x79,0x56,0x34,0x12,0xaf]

v_or3_b32 v5, v1, v2, s3
// GFX13: v_or3_b32 v5, v1, v2, s3                ; encoding: [0x05,0x00,0x72,0xd7,0x01,0x05,0x0e,0x00]

v_or3_b32 v5, v255, s2, s105
// GFX13: v_or3_b32 v5, v255, s2, s105            ; encoding: [0x05,0x00,0x72,0xd7,0xff,0x05,0xa4,0x01]

v_or3_b32 v5, s1, v255, exec_hi
// GFX13: v_or3_b32 v5, s1, v255, exec_hi         ; encoding: [0x05,0x00,0x72,0xd7,0x01,0xfe,0xff,0x01]

v_or3_b32 v5, s105, s105, exec_lo
// GFX13: v_or3_b32 v5, s105, s105, exec_lo       ; encoding: [0x05,0x00,0x72,0xd7,0x69,0xd2,0xf8,0x01]

v_or3_b32 v5, vcc_lo, ttmp15, v3
// GFX13: v_or3_b32 v5, vcc_lo, ttmp15, v3        ; encoding: [0x05,0x00,0x72,0xd7,0x6a,0xf6,0x0c,0x04]

v_or3_b32 v5, vcc_hi, 0xaf123456, v255
// GFX13: v_or3_b32 v5, vcc_hi, 0xaf123456, v255  ; encoding: [0x05,0x00,0x72,0xd7,0x6b,0xfe,0xfd,0x07,0x56,0x34,0x12,0xaf]

v_or3_b32 v5, ttmp15, src_scc, ttmp15
// GFX13: v_or3_b32 v5, ttmp15, src_scc, ttmp15   ; encoding: [0x05,0x00,0x72,0xd7,0x7b,0xfa,0xed,0x01]

v_or3_b32 v5, m0, 0.5, m0
// GFX13: v_or3_b32 v5, m0, 0.5, m0               ; encoding: [0x05,0x00,0x72,0xd7,0x7d,0xe0,0xf5,0x01]

v_or3_b32 v5, exec_lo, -1, vcc_hi
// GFX13: v_or3_b32 v5, exec_lo, -1, vcc_hi       ; encoding: [0x05,0x00,0x72,0xd7,0x7e,0x82,0xad,0x01]

v_or3_b32 v5, exec_hi, null, vcc_lo
// GFX13: v_or3_b32 v5, exec_hi, null, vcc_lo     ; encoding: [0x05,0x00,0x72,0xd7,0x7f,0xf8,0xa8,0x01]

v_or3_b32 v5, null, exec_lo, 0xaf123456
// GFX13: v_or3_b32 v5, null, exec_lo, 0xaf123456 ; encoding: [0x05,0x00,0x72,0xd7,0x7c,0xfc,0xfc,0x03,0x56,0x34,0x12,0xaf]

v_or3_b32 v5, -1, exec_hi, src_scc
// GFX13: v_or3_b32 v5, -1, exec_hi, src_scc      ; encoding: [0x05,0x00,0x72,0xd7,0xc1,0xfe,0xf4,0x03]

v_or3_b32 v5, 0.5, m0, 0.5
// GFX13: v_or3_b32 v5, 0.5, m0, 0.5              ; encoding: [0x05,0x00,0x72,0xd7,0xf0,0xfa,0xc0,0x03]

v_or3_b32 v5, src_scc, vcc_lo, -1
// GFX13: v_or3_b32 v5, src_scc, vcc_lo, -1       ; encoding: [0x05,0x00,0x72,0xd7,0xfd,0xd4,0x04,0x03]

v_or3_b32 v255, 0xaf123456, vcc_hi, null
// GFX13: v_or3_b32 v255, 0xaf123456, vcc_hi, null ; encoding: [0xff,0x00,0x72,0xd7,0xff,0xd6,0xf0,0x01,0x56,0x34,0x12,0xaf]

v_or_b16 v5, v1, v2
// GFX13: v_or_b16 v5, v1, v2                     ; encoding: [0x05,0x00,0x25,0xd7,0x01,0x05,0x02,0x02]

v_or_b16 v5, v255, v255
// GFX13: v_or_b16 v5, v255, v255                 ; encoding: [0x05,0x00,0x25,0xd7,0xff,0xff,0x03,0x02]

v_or_b16 v5, s1, s2
// GFX13: v_or_b16 v5, s1, s2                     ; encoding: [0x05,0x00,0x25,0xd7,0x01,0x04,0x00,0x02]

v_or_b16 v5, s105, s105
// GFX13: v_or_b16 v5, s105, s105                 ; encoding: [0x05,0x00,0x25,0xd7,0x69,0xd2,0x00,0x02]

v_or_b16 v5, vcc_lo, ttmp15
// GFX13: v_or_b16 v5, vcc_lo, ttmp15             ; encoding: [0x05,0x00,0x25,0xd7,0x6a,0xf6,0x00,0x02]

v_or_b16 v5, vcc_hi, 0xfe0b
// GFX13: v_or_b16 v5, vcc_hi, 0xfe0b             ; encoding: [0x05,0x00,0x25,0xd7,0x6b,0xfe,0x01,0x02,0x0b,0xfe,0x00,0x00]

v_or_b16 v5, ttmp15, src_scc
// GFX13: v_or_b16 v5, ttmp15, src_scc            ; encoding: [0x05,0x00,0x25,0xd7,0x7b,0xfa,0x01,0x02]

v_or_b16 v5, m0, 0.5
// GFX13: v_or_b16 v5, m0, 0.5                    ; encoding: [0x05,0x00,0x25,0xd7,0x7d,0xe0,0x01,0x02]

v_or_b16 v5, exec_lo, -1
// GFX13: v_or_b16 v5, exec_lo, -1                ; encoding: [0x05,0x00,0x25,0xd7,0x7e,0x82,0x01,0x02]

v_or_b16 v5, exec_hi, null
// GFX13: v_or_b16 v5, exec_hi, null              ; encoding: [0x05,0x00,0x25,0xd7,0x7f,0xf8,0x00,0x02]

v_or_b16 v5, null, exec_lo
// GFX13: v_or_b16 v5, null, exec_lo              ; encoding: [0x05,0x00,0x25,0xd7,0x7c,0xfc,0x00,0x02]

v_or_b16 v5, -1, exec_hi
// GFX13: v_or_b16 v5, -1, exec_hi                ; encoding: [0x05,0x00,0x25,0xd7,0xc1,0xfe,0x00,0x02]

v_or_b16 v5, 0.5, m0
// GFX13: v_or_b16 v5, 0.5, m0                    ; encoding: [0x05,0x00,0x25,0xd7,0xf0,0xfa,0x00,0x02]

v_or_b16 v5, src_scc, vcc_lo
// GFX13: v_or_b16 v5, src_scc, vcc_lo            ; encoding: [0x05,0x00,0x25,0xd7,0xfd,0xd4,0x00,0x02]

v_or_b16 v255, 0xfe0b, vcc_hi
// GFX13: v_or_b16 v255, 0xfe0b, vcc_hi           ; encoding: [0xff,0x00,0x25,0xd7,0xff,0xd6,0x00,0x02,0x0b,0xfe,0x00,0x00]

v_pack_b32_f16 v5, v1, v2
// GFX13: v_pack_b32_f16 v5, v1, v2               ; encoding: [0x05,0x00,0x11,0xd7,0x01,0x05,0x02,0x02]

v_pack_b32_f16 v5, v255, v255
// GFX13: v_pack_b32_f16 v5, v255, v255           ; encoding: [0x05,0x00,0x11,0xd7,0xff,0xff,0x03,0x02]

v_pack_b32_f16 v5, s1, s2
// GFX13: v_pack_b32_f16 v5, s1, s2               ; encoding: [0x05,0x00,0x11,0xd7,0x01,0x04,0x00,0x02]

v_pack_b32_f16 v5, s105, s105
// GFX13: v_pack_b32_f16 v5, s105, s105           ; encoding: [0x05,0x00,0x11,0xd7,0x69,0xd2,0x00,0x02]

v_pack_b32_f16 v5, vcc_lo, ttmp15
// GFX13: v_pack_b32_f16 v5, vcc_lo, ttmp15       ; encoding: [0x05,0x00,0x11,0xd7,0x6a,0xf6,0x00,0x02]

v_pack_b32_f16 v5, vcc_hi, 0xfe0b
// GFX13: v_pack_b32_f16 v5, vcc_hi, 0xfe0b       ; encoding: [0x05,0x00,0x11,0xd7,0x6b,0xfe,0x01,0x02,0x0b,0xfe,0x00,0x00]

v_pack_b32_f16 v5, ttmp15, src_scc
// GFX13: v_pack_b32_f16 v5, ttmp15, src_scc      ; encoding: [0x05,0x00,0x11,0xd7,0x7b,0xfa,0x01,0x02]

v_pack_b32_f16 v5, m0, 0.5
// GFX13: v_pack_b32_f16 v5, m0, 0.5              ; encoding: [0x05,0x00,0x11,0xd7,0x7d,0xe0,0x01,0x02]

v_pack_b32_f16 v5, exec_lo, -1
// GFX13: v_pack_b32_f16 v5, exec_lo, -1          ; encoding: [0x05,0x00,0x11,0xd7,0x7e,0x82,0x01,0x02]

v_pack_b32_f16 v5, |exec_hi|, null
// GFX13: v_pack_b32_f16 v5, |exec_hi|, null      ; encoding: [0x05,0x01,0x11,0xd7,0x7f,0xf8,0x00,0x02]

v_pack_b32_f16 v5, null, exec_lo
// GFX13: v_pack_b32_f16 v5, null, exec_lo        ; encoding: [0x05,0x00,0x11,0xd7,0x7c,0xfc,0x00,0x02]

v_pack_b32_f16 v5, -1, exec_hi
// GFX13: v_pack_b32_f16 v5, -1, exec_hi          ; encoding: [0x05,0x00,0x11,0xd7,0xc1,0xfe,0x00,0x02]

v_pack_b32_f16 v5, 0.5, -m0 op_sel:[0,0,0]
// GFX13: v_pack_b32_f16 v5, 0.5, -m0             ; encoding: [0x05,0x00,0x11,0xd7,0xf0,0xfa,0x00,0x42]

v_pack_b32_f16 v5, -src_scc, |vcc_lo| op_sel:[1,0,0]
// GFX13: v_pack_b32_f16 v5, -src_scc, |vcc_lo| op_sel:[1,0,0] ; encoding: [0x05,0x0a,0x11,0xd7,0xfd,0xd4,0x00,0x22]

v_pack_b32_f16 v255, -|0xfe0b|, -|vcc_hi| op_sel:[0,1,0]
// GFX13: v_pack_b32_f16 v255, -|0xfe0b|, -|vcc_hi| op_sel:[0,1,0] ; encoding: [0xff,0x13,0x11,0xd7,0xff,0xd6,0x00,0x62,0x0b,0xfe,0x00,0x00]

v_perm_b32 v5, v1, v2, s3
// GFX13: v_perm_b32 v5, v1, v2, s3               ; encoding: [0x05,0x00,0x44,0xd7,0x01,0x05,0x0e,0x00]

v_perm_b32 v5, v255, s2, s105
// GFX13: v_perm_b32 v5, v255, s2, s105           ; encoding: [0x05,0x00,0x44,0xd7,0xff,0x05,0xa4,0x01]

v_perm_b32 v5, s1, v255, exec_hi
// GFX13: v_perm_b32 v5, s1, v255, exec_hi        ; encoding: [0x05,0x00,0x44,0xd7,0x01,0xfe,0xff,0x01]

v_perm_b32 v5, s105, s105, exec_lo
// GFX13: v_perm_b32 v5, s105, s105, exec_lo      ; encoding: [0x05,0x00,0x44,0xd7,0x69,0xd2,0xf8,0x01]

v_perm_b32 v5, vcc_lo, ttmp15, v3
// GFX13: v_perm_b32 v5, vcc_lo, ttmp15, v3       ; encoding: [0x05,0x00,0x44,0xd7,0x6a,0xf6,0x0c,0x04]

v_perm_b32 v5, vcc_hi, 0xaf123456, v255
// GFX13: v_perm_b32 v5, vcc_hi, 0xaf123456, v255 ; encoding: [0x05,0x00,0x44,0xd7,0x6b,0xfe,0xfd,0x07,0x56,0x34,0x12,0xaf]

v_perm_b32 v5, ttmp15, src_scc, ttmp15
// GFX13: v_perm_b32 v5, ttmp15, src_scc, ttmp15  ; encoding: [0x05,0x00,0x44,0xd7,0x7b,0xfa,0xed,0x01]

v_perm_b32 v5, m0, 0.5, m0
// GFX13: v_perm_b32 v5, m0, 0.5, m0              ; encoding: [0x05,0x00,0x44,0xd7,0x7d,0xe0,0xf5,0x01]

v_perm_b32 v5, exec_lo, -1, vcc_hi
// GFX13: v_perm_b32 v5, exec_lo, -1, vcc_hi      ; encoding: [0x05,0x00,0x44,0xd7,0x7e,0x82,0xad,0x01]

v_perm_b32 v5, exec_hi, null, vcc_lo
// GFX13: v_perm_b32 v5, exec_hi, null, vcc_lo    ; encoding: [0x05,0x00,0x44,0xd7,0x7f,0xf8,0xa8,0x01]

v_perm_b32 v5, null, exec_lo, 0xaf123456
// GFX13: v_perm_b32 v5, null, exec_lo, 0xaf123456 ; encoding: [0x05,0x00,0x44,0xd7,0x7c,0xfc,0xfc,0x03,0x56,0x34,0x12,0xaf]

v_perm_b32 v5, -1, exec_hi, src_scc
// GFX13: v_perm_b32 v5, -1, exec_hi, src_scc     ; encoding: [0x05,0x00,0x44,0xd7,0xc1,0xfe,0xf4,0x03]

v_perm_b32 v5, 0.5, m0, 0.5
// GFX13: v_perm_b32 v5, 0.5, m0, 0.5             ; encoding: [0x05,0x00,0x44,0xd7,0xf0,0xfa,0xc0,0x03]

v_perm_b32 v5, src_scc, vcc_lo, -1
// GFX13: v_perm_b32 v5, src_scc, vcc_lo, -1      ; encoding: [0x05,0x00,0x44,0xd7,0xfd,0xd4,0x04,0x03]

v_perm_b32 v255, 0xaf123456, vcc_hi, null
// GFX13: v_perm_b32 v255, 0xaf123456, vcc_hi, null ; encoding: [0xff,0x00,0x44,0xd7,0xff,0xd6,0xf0,0x01,0x56,0x34,0x12,0xaf]

v_perm_pk16_b4_u4 v[2:3], s4, v5, v[6:7]
// GFX13: v_perm_pk16_b4_u4 v[2:3], s4, v5, v[6:7] ; encoding: [0x02,0x00,0x48,0xd7,0x04,0x0a,0x1a,0x04]

v_perm_pk16_b4_u4 v[2:3], v4, ttmp5, s[6:7]
// GFX13: v_perm_pk16_b4_u4 v[2:3], v4, ttmp5, s[6:7] ; encoding: [0x02,0x00,0x48,0xd7,0x04,0xe3,0x18,0x00]

v_perm_pk16_b4_u4 v[2:3], v4, v5, 100
// GFX13: v_perm_pk16_b4_u4 v[2:3], v4, v5, 0x64  ; encoding: [0x02,0x00,0x48,0xd7,0x04,0x0b,0xfe,0x03,0x64,0x00,0x00,0x00]

v_perm_pk16_b4_u4 v[2:3], v4, v5, 4
// GFX13: v_perm_pk16_b4_u4 v[2:3], v4, v5, 4     ; encoding: [0x02,0x00,0x48,0xd7,0x04,0x0b,0x12,0x02]

v_perm_pk16_b4_u4 v[2:3], v4, v5, v[6:7]
// GFX13: v_perm_pk16_b4_u4 v[2:3], v4, v5, v[6:7] ; encoding: [0x02,0x00,0x48,0xd7,0x04,0x0b,0x1a,0x04]

v_perm_pk16_b6_u4 v[2:4], s4, v[4:5], v[6:7]
// GFX13: v_perm_pk16_b6_u4 v[2:4], s4, v[4:5], v[6:7] ; encoding: [0x02,0x00,0x49,0xd7,0x04,0x08,0x1a,0x04]

v_perm_pk16_b6_u4 v[2:4], v4, ttmp[4:5], s[6:7]
// GFX13: v_perm_pk16_b6_u4 v[2:4], v4, ttmp[4:5], s[6:7] ; encoding: [0x02,0x00,0x49,0xd7,0x04,0xe1,0x18,0x00]

v_perm_pk16_b6_u4 v[2:4], v4, v[4:5], 100
// GFX13: v_perm_pk16_b6_u4 v[2:4], v4, v[4:5], 0x64 ; encoding: [0x02,0x00,0x49,0xd7,0x04,0x09,0xfe,0x03,0x64,0x00,0x00,0x00]

v_perm_pk16_b6_u4 v[2:4], v4, v[4:5], 4
// GFX13: v_perm_pk16_b6_u4 v[2:4], v4, v[4:5], 4 ; encoding: [0x02,0x00,0x49,0xd7,0x04,0x09,0x12,0x02]

v_perm_pk16_b6_u4 v[2:4], v4, v[8:9], v[6:7]
// GFX13: v_perm_pk16_b6_u4 v[2:4], v4, v[8:9], v[6:7] ; encoding: [0x02,0x00,0x49,0xd7,0x04,0x11,0x1a,0x04]

v_perm_pk16_b8_u4 v[2:5], s[4:5], v[4:5], v[6:7]
// GFX13: v_perm_pk16_b8_u4 v[2:5], s[4:5], v[4:5], v[6:7] ; encoding: [0x02,0x00,0x4a,0xd7,0x04,0x08,0x1a,0x04]

v_perm_pk16_b8_u4 v[2:5], v[4:5], ttmp[4:5], s[6:7]
// GFX13: v_perm_pk16_b8_u4 v[2:5], v[4:5], ttmp[4:5], s[6:7] ; encoding: [0x02,0x00,0x4a,0xd7,0x04,0xe1,0x18,0x00]

v_perm_pk16_b8_u4 v[2:5], v[4:5], v[4:5], 100
// GFX13: v_perm_pk16_b8_u4 v[2:5], v[4:5], v[4:5], 0x64 ; encoding: [0x02,0x00,0x4a,0xd7,0x04,0x09,0xfe,0x03,0x64,0x00,0x00,0x00]

v_perm_pk16_b8_u4 v[2:5], v[4:5], v[4:5], 4
// GFX13: v_perm_pk16_b8_u4 v[2:5], v[4:5], v[4:5], 4 ; encoding: [0x02,0x00,0x4a,0xd7,0x04,0x09,0x12,0x02]

v_perm_pk16_b8_u4 v[2:5], v[4:5], v[8:9], v[6:7]
// GFX13: v_perm_pk16_b8_u4 v[2:5], v[4:5], v[8:9], v[6:7] ; encoding: [0x02,0x00,0x4a,0xd7,0x04,0x11,0x1a,0x04]

v_permlane16_b32 v5, v1, s2, s3
// GFX13: v_permlane16_b32 v5, v1, s2, s3         ; encoding: [0x05,0x00,0x77,0xd7,0x01,0x05,0x0c,0x00]

v_permlane16_b32 v5, v1, s105, s105
// GFX13: v_permlane16_b32 v5, v1, s105, s105     ; encoding: [0x05,0x00,0x77,0xd7,0x01,0xd3,0xa4,0x01]

v_permlane16_b32 v5, v1, ttmp15, ttmp15
// GFX13: v_permlane16_b32 v5, v1, ttmp15, ttmp15 ; encoding: [0x05,0x00,0x77,0xd7,0x01,0xf7,0xec,0x01]

v_permlane16_b32 v5, v1, vcc_hi, exec_lo
// GFX13: v_permlane16_b32 v5, v1, vcc_hi, exec_lo ; encoding: [0x05,0x00,0x77,0xd7,0x01,0xd7,0xf8,0x01]

v_permlane16_b32 v5, v1, vcc_lo, m0
// GFX13: v_permlane16_b32 v5, v1, vcc_lo, m0     ; encoding: [0x05,0x00,0x77,0xd7,0x01,0xd5,0xf4,0x01]

v_permlane16_b32 v5, v1, m0, vcc_hi
// GFX13: v_permlane16_b32 v5, v1, m0, vcc_hi     ; encoding: [0x05,0x00,0x77,0xd7,0x01,0xfb,0xac,0x01]

v_permlane16_b32 v5, v1, exec_hi, vcc_lo
// GFX13: v_permlane16_b32 v5, v1, exec_hi, vcc_lo ; encoding: [0x05,0x00,0x77,0xd7,0x01,0xff,0xa8,0x01]

v_permlane16_b32 v5, v1, exec_lo, src_scc
// GFX13: v_permlane16_b32 v5, v1, exec_lo, src_scc ; encoding: [0x05,0x00,0x77,0xd7,0x01,0xfd,0xf4,0x03]

v_permlane16_b32 v5, v1, null, 0.5 op_sel:[1,1]
// GFX13: v_permlane16_b32 v5, v1, null, 0.5 op_sel:[1,1] ; encoding: [0x05,0x18,0x77,0xd7,0x01,0xf9,0xc0,0x03]

v_permlane16_b32 v5, v1, -1, -1 op_sel:[0,0]
// GFX13: v_permlane16_b32 v5, v1, -1, -1         ; encoding: [0x05,0x00,0x77,0xd7,0x01,0x83,0x05,0x03]

v_permlane16_b32 v5, v1, 0.5, null op_sel:[1,0]
// GFX13: v_permlane16_b32 v5, v1, 0.5, null op_sel:[1,0] ; encoding: [0x05,0x08,0x77,0xd7,0x01,0xe1,0xf1,0x01]

v_permlane16_b32 v255, v255, src_scc, exec_hi op_sel:[0,1]
// GFX13: v_permlane16_b32 v255, v255, src_scc, exec_hi op_sel:[0,1] ; encoding: [0xff,0x10,0x77,0xd7,0xff,0xfb,0xfd,0x01]

v_permlane_bcast_b32 v5, v1, exec_hi, vcc_lo
// W32: v_permlane_bcast_b32 v5, v1, exec_hi, vcc_lo ; encoding: [0x05,0x00,0x70,0xd6,0x01,0xff,0xa8,0x01]
// W64-ERR: :[[@LINE-2]]:1: error: instruction requires wavesize=32

v_permlane_bcast_b32 v5, v1, exec_lo, src_scc
// W32: v_permlane_bcast_b32 v5, v1, exec_lo, src_scc ; encoding: [0x05,0x00,0x70,0xd6,0x01,0xfd,0xf4,0x03]
// W64-ERR: :[[@LINE-2]]:1: error: instruction requires wavesize=32

v_permlane_bcast_b32 v5, v1, m0, vcc_hi
// W32: v_permlane_bcast_b32 v5, v1, m0, vcc_hi ; encoding: [0x05,0x00,0x70,0xd6,0x01,0xfb,0xac,0x01]
// W64-ERR: :[[@LINE-2]]:1: error: instruction requires wavesize=32

v_permlane_bcast_b32 v5, v1, s105, s105
// W32: v_permlane_bcast_b32 v5, v1, s105, s105 ; encoding: [0x05,0x00,0x70,0xd6,0x01,0xd3,0xa4,0x01]
// W64-ERR: :[[@LINE-2]]:1: error: instruction requires wavesize=32

v_permlane_bcast_b32 v5, v1, s2, s3
// W32: v_permlane_bcast_b32 v5, v1, s2, s3     ; encoding: [0x05,0x00,0x70,0xd6,0x01,0x05,0x0c,0x00]
// W64-ERR: :[[@LINE-2]]:1: error: instruction requires wavesize=32

v_permlane_bcast_b32 v5, v1, ttmp15, ttmp15
// W32: v_permlane_bcast_b32 v5, v1, ttmp15, ttmp15 ; encoding: [0x05,0x00,0x70,0xd6,0x01,0xf7,0xec,0x01]
// W64-ERR: :[[@LINE-2]]:1: error: instruction requires wavesize=32

v_permlane_bcast_b32 v5, v1, vcc_hi, exec_lo
// W32: v_permlane_bcast_b32 v5, v1, vcc_hi, exec_lo ; encoding: [0x05,0x00,0x70,0xd6,0x01,0xd7,0xf8,0x01]
// W64-ERR: :[[@LINE-2]]:1: error: instruction requires wavesize=32

v_permlane_bcast_b32 v5, v1, vcc_lo, m0
// W32: v_permlane_bcast_b32 v5, v1, vcc_lo, m0 ; encoding: [0x05,0x00,0x70,0xd6,0x01,0xd5,0xf4,0x01]
// W64-ERR: :[[@LINE-2]]:1: error: instruction requires wavesize=32

v_permlane_down_b32 v5, v1, exec_hi, vcc_lo
// W32: v_permlane_down_b32 v5, v1, exec_hi, vcc_lo ; encoding: [0x05,0x00,0x72,0xd6,0x01,0xff,0xa8,0x01]
// W64-ERR: :[[@LINE-2]]:1: error: instruction requires wavesize=32

v_permlane_down_b32 v5, v1, exec_lo, src_scc
// W32: v_permlane_down_b32 v5, v1, exec_lo, src_scc ; encoding: [0x05,0x00,0x72,0xd6,0x01,0xfd,0xf4,0x03]
// W64-ERR: :[[@LINE-2]]:1: error: instruction requires wavesize=32

v_permlane_down_b32 v5, v1, m0, vcc_hi
// W32: v_permlane_down_b32 v5, v1, m0, vcc_hi  ; encoding: [0x05,0x00,0x72,0xd6,0x01,0xfb,0xac,0x01]
// W64-ERR: :[[@LINE-2]]:1: error: instruction requires wavesize=32

v_permlane_down_b32 v5, v1, s105, s105
// W32: v_permlane_down_b32 v5, v1, s105, s105  ; encoding: [0x05,0x00,0x72,0xd6,0x01,0xd3,0xa4,0x01]
// W64-ERR: :[[@LINE-2]]:1: error: instruction requires wavesize=32

v_permlane_down_b32 v5, v1, s2, s3
// W32: v_permlane_down_b32 v5, v1, s2, s3      ; encoding: [0x05,0x00,0x72,0xd6,0x01,0x05,0x0c,0x00]
// W64-ERR: :[[@LINE-2]]:1: error: instruction requires wavesize=32

v_permlane_down_b32 v5, v1, ttmp15, ttmp15
// W32: v_permlane_down_b32 v5, v1, ttmp15, ttmp15 ; encoding: [0x05,0x00,0x72,0xd6,0x01,0xf7,0xec,0x01]
// W64-ERR: :[[@LINE-2]]:1: error: instruction requires wavesize=32

v_permlane_down_b32 v5, v1, vcc_hi, exec_lo
// W32: v_permlane_down_b32 v5, v1, vcc_hi, exec_lo ; encoding: [0x05,0x00,0x72,0xd6,0x01,0xd7,0xf8,0x01]
// W64-ERR: :[[@LINE-2]]:1: error: instruction requires wavesize=32

v_permlane_down_b32 v5, v1, vcc_lo, m0
// W32: v_permlane_down_b32 v5, v1, vcc_lo, m0  ; encoding: [0x05,0x00,0x72,0xd6,0x01,0xd5,0xf4,0x01]
// W64-ERR: :[[@LINE-2]]:1: error: instruction requires wavesize=32

v_permlane_idx_gen_b32 v5, v1, exec_hi
// W32: v_permlane_idx_gen_b32 v5, v1, exec_hi  ; encoding: [0x05,0x00,0x17,0xd7,0x01,0xff,0x00,0x02]
// W64-ERR: :[[@LINE-2]]:1: error: instruction requires wavesize=32

v_permlane_idx_gen_b32 v5, v1, exec_lo
// W32: v_permlane_idx_gen_b32 v5, v1, exec_lo  ; encoding: [0x05,0x00,0x17,0xd7,0x01,0xfd,0x00,0x02]
// W64-ERR: :[[@LINE-2]]:1: error: instruction requires wavesize=32

v_permlane_idx_gen_b32 v5, v1, m0
// W32: v_permlane_idx_gen_b32 v5, v1, m0       ; encoding: [0x05,0x00,0x17,0xd7,0x01,0xfb,0x00,0x02]
// W64-ERR: :[[@LINE-2]]:1: error: instruction requires wavesize=32

v_permlane_idx_gen_b32 v5, v1, s105
// W32: v_permlane_idx_gen_b32 v5, v1, s105     ; encoding: [0x05,0x00,0x17,0xd7,0x01,0xd3,0x00,0x02]
// W64-ERR: :[[@LINE-2]]:1: error: instruction requires wavesize=32

v_permlane_idx_gen_b32 v5, v1, s2
// W32: v_permlane_idx_gen_b32 v5, v1, s2       ; encoding: [0x05,0x00,0x17,0xd7,0x01,0x05,0x00,0x02]
// W64-ERR: :[[@LINE-2]]:1: error: instruction requires wavesize=32

v_permlane_idx_gen_b32 v5, v1, ttmp15
// W32: v_permlane_idx_gen_b32 v5, v1, ttmp15   ; encoding: [0x05,0x00,0x17,0xd7,0x01,0xf7,0x00,0x02]
// W64-ERR: :[[@LINE-2]]:1: error: instruction requires wavesize=32

v_permlane_idx_gen_b32 v5, v1, vcc_hi
// W32: v_permlane_idx_gen_b32 v5, v1, vcc_hi   ; encoding: [0x05,0x00,0x17,0xd7,0x01,0xd7,0x00,0x02]
// W64-ERR: :[[@LINE-2]]:1: error: instruction requires wavesize=32

v_permlane_idx_gen_b32 v5, v1, vcc_lo
// W32: v_permlane_idx_gen_b32 v5, v1, vcc_lo   ; encoding: [0x05,0x00,0x17,0xd7,0x01,0xd5,0x00,0x02]
// W64-ERR: :[[@LINE-2]]:1: error: instruction requires wavesize=32

v_permlane_up_b32 v5, v1, exec_hi, vcc_lo
// W32: v_permlane_up_b32 v5, v1, exec_hi, vcc_lo ; encoding: [0x05,0x00,0x71,0xd6,0x01,0xff,0xa8,0x01]
// W64-ERR: :[[@LINE-2]]:1: error: instruction requires wavesize=32

v_permlane_up_b32 v5, v1, exec_lo, src_scc
// W32: v_permlane_up_b32 v5, v1, exec_lo, src_scc ; encoding: [0x05,0x00,0x71,0xd6,0x01,0xfd,0xf4,0x03]
// W64-ERR: :[[@LINE-2]]:1: error: instruction requires wavesize=32

v_permlane_up_b32 v5, v1, m0, vcc_hi
// W32: v_permlane_up_b32 v5, v1, m0, vcc_hi    ; encoding: [0x05,0x00,0x71,0xd6,0x01,0xfb,0xac,0x01]
// W64-ERR: :[[@LINE-2]]:1: error: instruction requires wavesize=32

v_permlane_up_b32 v5, v1, s105, s105
// W32: v_permlane_up_b32 v5, v1, s105, s105    ; encoding: [0x05,0x00,0x71,0xd6,0x01,0xd3,0xa4,0x01]
// W64-ERR: :[[@LINE-2]]:1: error: instruction requires wavesize=32

v_permlane_up_b32 v5, v1, s2, s3
// W32: v_permlane_up_b32 v5, v1, s2, s3        ; encoding: [0x05,0x00,0x71,0xd6,0x01,0x05,0x0c,0x00]
// W64-ERR: :[[@LINE-2]]:1: error: instruction requires wavesize=32

v_permlane_up_b32 v5, v1, ttmp15, ttmp15
// W32: v_permlane_up_b32 v5, v1, ttmp15, ttmp15 ; encoding: [0x05,0x00,0x71,0xd6,0x01,0xf7,0xec,0x01]
// W64-ERR: :[[@LINE-2]]:1: error: instruction requires wavesize=32

v_permlane_up_b32 v5, v1, vcc_hi, exec_lo
// W32: v_permlane_up_b32 v5, v1, vcc_hi, exec_lo ; encoding: [0x05,0x00,0x71,0xd6,0x01,0xd7,0xf8,0x01]
// W64-ERR: :[[@LINE-2]]:1: error: instruction requires wavesize=32

v_permlane_up_b32 v5, v1, vcc_lo, m0
// W32: v_permlane_up_b32 v5, v1, vcc_lo, m0    ; encoding: [0x05,0x00,0x71,0xd6,0x01,0xd5,0xf4,0x01]
// W64-ERR: :[[@LINE-2]]:1: error: instruction requires wavesize=32

v_permlane_xor_b32 v5, v1, exec_hi, vcc_lo
// W32: v_permlane_xor_b32 v5, v1, exec_hi, vcc_lo ; encoding: [0x05,0x00,0x73,0xd6,0x01,0xff,0xa8,0x01]
// W64-ERR: :[[@LINE-2]]:1: error: instruction requires wavesize=32

v_permlane_xor_b32 v5, v1, exec_lo, src_scc
// W32: v_permlane_xor_b32 v5, v1, exec_lo, src_scc ; encoding: [0x05,0x00,0x73,0xd6,0x01,0xfd,0xf4,0x03]
// W64-ERR: :[[@LINE-2]]:1: error: instruction requires wavesize=32

v_permlane_xor_b32 v5, v1, m0, vcc_hi
// W32: v_permlane_xor_b32 v5, v1, m0, vcc_hi   ; encoding: [0x05,0x00,0x73,0xd6,0x01,0xfb,0xac,0x01]
// W64-ERR: :[[@LINE-2]]:1: error: instruction requires wavesize=32

v_permlane_xor_b32 v5, v1, s105, s105
// W32: v_permlane_xor_b32 v5, v1, s105, s105   ; encoding: [0x05,0x00,0x73,0xd6,0x01,0xd3,0xa4,0x01]
// W64-ERR: :[[@LINE-2]]:1: error: instruction requires wavesize=32

v_permlane_xor_b32 v5, v1, s2, s3
// W32: v_permlane_xor_b32 v5, v1, s2, s3       ; encoding: [0x05,0x00,0x73,0xd6,0x01,0x05,0x0c,0x00]
// W64-ERR: :[[@LINE-2]]:1: error: instruction requires wavesize=32

v_permlane_xor_b32 v5, v1, ttmp15, ttmp15
// W32: v_permlane_xor_b32 v5, v1, ttmp15, ttmp15 ; encoding: [0x05,0x00,0x73,0xd6,0x01,0xf7,0xec,0x01]
// W64-ERR: :[[@LINE-2]]:1: error: instruction requires wavesize=32

v_permlane_xor_b32 v5, v1, vcc_hi, exec_lo
// W32: v_permlane_xor_b32 v5, v1, vcc_hi, exec_lo ; encoding: [0x05,0x00,0x73,0xd6,0x01,0xd7,0xf8,0x01]
// W64-ERR: :[[@LINE-2]]:1: error: instruction requires wavesize=32

v_permlane_xor_b32 v5, v1, vcc_lo, m0
// W32: v_permlane_xor_b32 v5, v1, vcc_lo, m0   ; encoding: [0x05,0x00,0x73,0xd6,0x01,0xd5,0xf4,0x01]
// W64-ERR: :[[@LINE-2]]:1: error: instruction requires wavesize=32

v_permlanex16_b32 v5, v1, s2, s3
// GFX13: v_permlanex16_b32 v5, v1, s2, s3        ; encoding: [0x05,0x00,0x78,0xd7,0x01,0x05,0x0c,0x00]

v_permlanex16_b32 v5, v1, s105, s105
// GFX13: v_permlanex16_b32 v5, v1, s105, s105    ; encoding: [0x05,0x00,0x78,0xd7,0x01,0xd3,0xa4,0x01]

v_permlanex16_b32 v5, v1, ttmp15, ttmp15
// GFX13: v_permlanex16_b32 v5, v1, ttmp15, ttmp15 ; encoding: [0x05,0x00,0x78,0xd7,0x01,0xf7,0xec,0x01]

v_permlanex16_b32 v5, v1, vcc_hi, exec_lo
// GFX13: v_permlanex16_b32 v5, v1, vcc_hi, exec_lo ; encoding: [0x05,0x00,0x78,0xd7,0x01,0xd7,0xf8,0x01]

v_permlanex16_b32 v5, v1, vcc_lo, m0
// GFX13: v_permlanex16_b32 v5, v1, vcc_lo, m0    ; encoding: [0x05,0x00,0x78,0xd7,0x01,0xd5,0xf4,0x01]

v_permlanex16_b32 v5, v1, m0, vcc_hi
// GFX13: v_permlanex16_b32 v5, v1, m0, vcc_hi    ; encoding: [0x05,0x00,0x78,0xd7,0x01,0xfb,0xac,0x01]

v_permlanex16_b32 v5, v1, exec_hi, vcc_lo
// GFX13: v_permlanex16_b32 v5, v1, exec_hi, vcc_lo ; encoding: [0x05,0x00,0x78,0xd7,0x01,0xff,0xa8,0x01]

v_permlanex16_b32 v5, v1, exec_lo, src_scc
// GFX13: v_permlanex16_b32 v5, v1, exec_lo, src_scc ; encoding: [0x05,0x00,0x78,0xd7,0x01,0xfd,0xf4,0x03]

v_permlanex16_b32 v5, v1, null, 0.5 op_sel:[1,1]
// GFX13: v_permlanex16_b32 v5, v1, null, 0.5 op_sel:[1,1] ; encoding: [0x05,0x18,0x78,0xd7,0x01,0xf9,0xc0,0x03]

v_permlanex16_b32 v5, v1, -1, -1 op_sel:[0,0]
// GFX13: v_permlanex16_b32 v5, v1, -1, -1        ; encoding: [0x05,0x00,0x78,0xd7,0x01,0x83,0x05,0x03]

v_permlanex16_b32 v5, v1, 0.5, null op_sel:[1,0]
// GFX13: v_permlanex16_b32 v5, v1, 0.5, null op_sel:[1,0] ; encoding: [0x05,0x08,0x78,0xd7,0x01,0xe1,0xf1,0x01]

v_permlanex16_b32 v255, v255, src_scc, exec_hi op_sel:[0,1]
// GFX13: v_permlanex16_b32 v255, v255, src_scc, exec_hi op_sel:[0,1] ; encoding: [0xff,0x10,0x78,0xd7,0xff,0xfb,0xfd,0x01]

v_permlane16_var_b32 v5, v1, v2
// GFX13: v_permlane16_var_b32 v5, v1, v2         ; encoding: [0x05,0x00,0x15,0xd7,0x01,0x05,0x02,0x02]

v_permlane16_var_b32 v5, v1, v255
// GFX13: v_permlane16_var_b32 v5, v1, v255       ; encoding: [0x05,0x00,0x15,0xd7,0x01,0xff,0x03,0x02]

v_permlane16_var_b32 v5, v255, v0
// GFX13: v_permlane16_var_b32 v5, v255, v0       ; encoding: [0x05,0x00,0x15,0xd7,0xff,0x01,0x02,0x02]
	;; [unrolled: 3-line block ×3, first 2 shown]

v_permlane16_var_b32 v5, v1, v50, op_sel:[1,1]
// GFX13: v_permlane16_var_b32 v5, v1, v50 op_sel:[1,1] ; encoding: [0x05,0x18,0x15,0xd7,0x01,0x65,0x02,0x02]

v_permlane16_var_b32 v5, v1, v50, op_sel:[0,0]
// GFX13: v_permlane16_var_b32 v5, v1, v50        ; encoding: [0x05,0x00,0x15,0xd7,0x01,0x65,0x02,0x02]

v_permlane16_var_b32 v5, v1, v50, op_sel:[1,0]
// GFX13: v_permlane16_var_b32 v5, v1, v50 op_sel:[1,0] ; encoding: [0x05,0x08,0x15,0xd7,0x01,0x65,0x02,0x02]

v_permlane16_var_b32 v255, v255, v0, op_sel:[0,1]
// GFX13: v_permlane16_var_b32 v255, v255, v0 op_sel:[0,1] ; encoding: [0xff,0x10,0x15,0xd7,0xff,0x01,0x02,0x02]

v_permlanex16_var_b32 v5, v1, v2
// GFX13: v_permlanex16_var_b32 v5, v1, v2        ; encoding: [0x05,0x00,0x16,0xd7,0x01,0x05,0x02,0x02]

v_permlanex16_var_b32 v5, v1, v105
// GFX13: v_permlanex16_var_b32 v5, v1, v105      ; encoding: [0x05,0x00,0x16,0xd7,0x01,0xd3,0x02,0x02]

v_permlanex16_var_b32 v5, v1, v255
// GFX13: v_permlanex16_var_b32 v5, v1, v255      ; encoding: [0x05,0x00,0x16,0xd7,0x01,0xff,0x03,0x02]

v_permlanex16_var_b32 v255, v1, v2
// GFX13: v_permlanex16_var_b32 v255, v1, v2      ; encoding: [0xff,0x00,0x16,0xd7,0x01,0x05,0x02,0x02]

v_permlanex16_var_b32 v1, v255, v2
// GFX13: v_permlanex16_var_b32 v1, v255, v2      ; encoding: [0x01,0x00,0x16,0xd7,0xff,0x05,0x02,0x02]

v_permlanex16_var_b32 v5, v1, v100, op_sel:[1,1]
// GFX13: v_permlanex16_var_b32 v5, v1, v100 op_sel:[1,1] ; encoding: [0x05,0x18,0x16,0xd7,0x01,0xc9,0x02,0x02]

v_permlanex16_var_b32 v5, v1, v100, op_sel:[0,0]
// GFX13: v_permlanex16_var_b32 v5, v1, v100      ; encoding: [0x05,0x00,0x16,0xd7,0x01,0xc9,0x02,0x02]

v_permlanex16_var_b32 v5, v1, v100, op_sel:[1,0]
// GFX13: v_permlanex16_var_b32 v5, v1, v100 op_sel:[1,0] ; encoding: [0x05,0x08,0x16,0xd7,0x01,0xc9,0x02,0x02]

v_permlanex16_var_b32 v255, v255, v100, op_sel:[0,1]
// GFX13: v_permlanex16_var_b32 v255, v255, v100 op_sel:[0,1] ; encoding: [0xff,0x10,0x16,0xd7,0xff,0xc9,0x02,0x02]

v_qsad_pk_u16_u8 v[5:6], v[1:2], v2, ttmp[14:15]
// GFX13: v_qsad_pk_u16_u8 v[5:6], v[1:2], v2, ttmp[14:15] ; encoding: [0x05,0x00,0x3a,0xd6,0x01,0x05,0xea,0x01]

v_qsad_pk_u16_u8 v[5:6], v[1:2], v255, ttmp[14:15]
// GFX13: v_qsad_pk_u16_u8 v[5:6], v[1:2], v255, ttmp[14:15] ; encoding: [0x05,0x00,0x3a,0xd6,0x01,0xff,0xeb,0x01]
	;; [unrolled: 3-line block ×4, first 2 shown]

v_qsad_pk_u16_u8 v[5:6], v[254:255], ttmp15, s[6:7]
// GFX13: v_qsad_pk_u16_u8 v[5:6], v[254:255], ttmp15, s[6:7] ; encoding: [0x05,0x00,0x3a,0xd6,0xfe,0xf7,0x18,0x00]

v_qsad_pk_u16_u8 v[5:6], s[2:3], vcc_hi, v[3:4]
// GFX13: v_qsad_pk_u16_u8 v[5:6], s[2:3], vcc_hi, v[3:4] ; encoding: [0x05,0x00,0x3a,0xd6,0x02,0xd6,0x0c,0x04]

v_qsad_pk_u16_u8 v[5:6], s[104:105], vcc_lo, s[104:105]
// GFX13: v_qsad_pk_u16_u8 v[5:6], s[104:105], vcc_lo, s[104:105] ; encoding: [0x05,0x00,0x3a,0xd6,0x68,0xd4,0xa0,0x01]

v_qsad_pk_u16_u8 v[5:6], vcc, m0, v[254:255]
// GFX13: v_qsad_pk_u16_u8 v[5:6], vcc, m0, v[254:255] ; encoding: [0x05,0x00,0x3a,0xd6,0x6a,0xfa,0xf8,0x07]

v_qsad_pk_u16_u8 v[5:6], ttmp[14:15], exec_hi, null
// GFX13: v_qsad_pk_u16_u8 v[5:6], ttmp[14:15], exec_hi, null ; encoding: [0x05,0x00,0x3a,0xd6,0x7a,0xfe,0xf0,0x01]

v_qsad_pk_u16_u8 v[5:6], exec, exec_lo, exec
// GFX13: v_qsad_pk_u16_u8 v[5:6], exec, exec_lo, exec ; encoding: [0x05,0x00,0x3a,0xd6,0x7e,0xfc,0xf8,0x01]

v_qsad_pk_u16_u8 v[5:6], null, null, vcc
// GFX13: v_qsad_pk_u16_u8 v[5:6], null, null, vcc ; encoding: [0x05,0x00,0x3a,0xd6,0x7c,0xf8,0xa8,0x01]

v_qsad_pk_u16_u8 v[5:6], -1, -1, 0xaf123456
// GFX13: v_qsad_pk_u16_u8 v[5:6], -1, -1, 0xaf123456 ; encoding: [0x05,0x00,0x3a,0xd6,0xc1,0x82,0xfd,0x03,0x56,0x34,0x12,0xaf]

v_qsad_pk_u16_u8 v[5:6], 0.5, 0.5, src_scc
// GFX13: v_qsad_pk_u16_u8 v[5:6], 0.5, 0.5, src_scc ; encoding: [0x05,0x00,0x3a,0xd6,0xf0,0xe0,0xf5,0x03]

v_qsad_pk_u16_u8 v[5:6], src_scc, src_scc, 0.5
// GFX13: v_qsad_pk_u16_u8 v[5:6], src_scc, src_scc, 0.5 ; encoding: [0x05,0x00,0x3a,0xd6,0xfd,0xfa,0xc1,0x03]

v_qsad_pk_u16_u8 v[254:255], 0xaf123456, 0xaf123456, -1 clamp
// GFX13: v_qsad_pk_u16_u8 v[254:255], 0xaf123456, 0xaf123456, -1 clamp ; encoding: [0xfe,0x80,0x3a,0xd6,0xff,0xfe,0x05,0x03,0x56,0x34,0x12,0xaf]

v_readlane_b32 s5, v1, s2
// GFX13: v_readlane_b32 s5, v1, s2               ; encoding: [0x05,0x00,0x60,0xd7,0x01,0x05,0x00,0x02]

v_readlane_b32 s5, v1, s105
// GFX13: v_readlane_b32 s5, v1, s105             ; encoding: [0x05,0x00,0x60,0xd7,0x01,0xd3,0x00,0x02]

v_readlane_b32 s105, v1, ttmp15
// GFX13: v_readlane_b32 s105, v1, ttmp15         ; encoding: [0x69,0x00,0x60,0xd7,0x01,0xf7,0x00,0x02]

v_readlane_b32 vcc_lo, v1, vcc_hi
// GFX13: v_readlane_b32 vcc_lo, v1, vcc_hi       ; encoding: [0x6a,0x00,0x60,0xd7,0x01,0xd7,0x00,0x02]

v_readlane_b32 vcc_hi, v1, vcc_lo
// GFX13: v_readlane_b32 vcc_hi, v1, vcc_lo       ; encoding: [0x6b,0x00,0x60,0xd7,0x01,0xd5,0x00,0x02]

v_readlane_b32 ttmp15, v1, m0
// GFX13: v_readlane_b32 ttmp15, v1, m0           ; encoding: [0x7b,0x00,0x60,0xd7,0x01,0xfb,0x00,0x02]

v_readlane_b32 null, v255, null
// GFX13: v_readlane_b32 null, v255, null         ; encoding: [0x7c,0x00,0x60,0xd7,0xff,0xf9,0x00,0x02]

v_sad_hi_u8 v5, v1, v2, s3
// GFX13: v_sad_hi_u8 v5, v1, v2, s3              ; encoding: [0x05,0x00,0x23,0xd6,0x01,0x05,0x0e,0x00]

v_sad_hi_u8 v5, v255, s2, s105
// GFX13: v_sad_hi_u8 v5, v255, s2, s105          ; encoding: [0x05,0x00,0x23,0xd6,0xff,0x05,0xa4,0x01]

v_sad_hi_u8 v5, s1, v255, exec_hi
// GFX13: v_sad_hi_u8 v5, s1, v255, exec_hi       ; encoding: [0x05,0x00,0x23,0xd6,0x01,0xfe,0xff,0x01]

v_sad_hi_u8 v5, s105, s105, exec_lo
// GFX13: v_sad_hi_u8 v5, s105, s105, exec_lo     ; encoding: [0x05,0x00,0x23,0xd6,0x69,0xd2,0xf8,0x01]

v_sad_hi_u8 v5, vcc_lo, ttmp15, v3
// GFX13: v_sad_hi_u8 v5, vcc_lo, ttmp15, v3      ; encoding: [0x05,0x00,0x23,0xd6,0x6a,0xf6,0x0c,0x04]

v_sad_hi_u8 v5, vcc_hi, 0xaf123456, v255
// GFX13: v_sad_hi_u8 v5, vcc_hi, 0xaf123456, v255 ; encoding: [0x05,0x00,0x23,0xd6,0x6b,0xfe,0xfd,0x07,0x56,0x34,0x12,0xaf]

v_sad_hi_u8 v5, ttmp15, src_scc, ttmp15
// GFX13: v_sad_hi_u8 v5, ttmp15, src_scc, ttmp15 ; encoding: [0x05,0x00,0x23,0xd6,0x7b,0xfa,0xed,0x01]

v_sad_hi_u8 v5, m0, 0.5, m0
// GFX13: v_sad_hi_u8 v5, m0, 0.5, m0             ; encoding: [0x05,0x00,0x23,0xd6,0x7d,0xe0,0xf5,0x01]

v_sad_hi_u8 v5, exec_lo, -1, vcc_hi
// GFX13: v_sad_hi_u8 v5, exec_lo, -1, vcc_hi     ; encoding: [0x05,0x00,0x23,0xd6,0x7e,0x82,0xad,0x01]

v_sad_hi_u8 v5, exec_hi, null, vcc_lo
// GFX13: v_sad_hi_u8 v5, exec_hi, null, vcc_lo   ; encoding: [0x05,0x00,0x23,0xd6,0x7f,0xf8,0xa8,0x01]

v_sad_hi_u8 v5, null, exec_lo, 0xaf123456
// GFX13: v_sad_hi_u8 v5, null, exec_lo, 0xaf123456 ; encoding: [0x05,0x00,0x23,0xd6,0x7c,0xfc,0xfc,0x03,0x56,0x34,0x12,0xaf]

v_sad_hi_u8 v5, -1, exec_hi, src_scc
// GFX13: v_sad_hi_u8 v5, -1, exec_hi, src_scc    ; encoding: [0x05,0x00,0x23,0xd6,0xc1,0xfe,0xf4,0x03]

v_sad_hi_u8 v5, 0.5, m0, 0.5
// GFX13: v_sad_hi_u8 v5, 0.5, m0, 0.5            ; encoding: [0x05,0x00,0x23,0xd6,0xf0,0xfa,0xc0,0x03]

v_sad_hi_u8 v5, src_scc, vcc_lo, -1
// GFX13: v_sad_hi_u8 v5, src_scc, vcc_lo, -1     ; encoding: [0x05,0x00,0x23,0xd6,0xfd,0xd4,0x04,0x03]

v_sad_hi_u8 v255, 0xaf123456, vcc_hi, null clamp
// GFX13: v_sad_hi_u8 v255, 0xaf123456, vcc_hi, null clamp ; encoding: [0xff,0x80,0x23,0xd6,0xff,0xd6,0xf0,0x01,0x56,0x34,0x12,0xaf]

v_sad_u16 v5, v1, v2, s3
// GFX13: v_sad_u16 v5, v1, v2, s3                ; encoding: [0x05,0x00,0x24,0xd6,0x01,0x05,0x0e,0x00]

v_sad_u16 v5, v255, s2, s105
// GFX13: v_sad_u16 v5, v255, s2, s105            ; encoding: [0x05,0x00,0x24,0xd6,0xff,0x05,0xa4,0x01]

v_sad_u16 v5, s1, v255, exec_hi
// GFX13: v_sad_u16 v5, s1, v255, exec_hi         ; encoding: [0x05,0x00,0x24,0xd6,0x01,0xfe,0xff,0x01]

v_sad_u16 v5, s105, s105, exec_lo
// GFX13: v_sad_u16 v5, s105, s105, exec_lo       ; encoding: [0x05,0x00,0x24,0xd6,0x69,0xd2,0xf8,0x01]

v_sad_u16 v5, vcc_lo, ttmp15, v3
// GFX13: v_sad_u16 v5, vcc_lo, ttmp15, v3        ; encoding: [0x05,0x00,0x24,0xd6,0x6a,0xf6,0x0c,0x04]

v_sad_u16 v5, vcc_hi, 0xfe0b, v255
// GFX13: v_sad_u16 v5, vcc_hi, 0xfe0b, v255      ; encoding: [0x05,0x00,0x24,0xd6,0x6b,0xfe,0xfd,0x07,0x0b,0xfe,0x00,0x00]

v_sad_u16 v5, ttmp15, src_scc, ttmp15
// GFX13: v_sad_u16 v5, ttmp15, src_scc, ttmp15   ; encoding: [0x05,0x00,0x24,0xd6,0x7b,0xfa,0xed,0x01]

v_sad_u16 v5, m0, 0.5, m0
// GFX13: v_sad_u16 v5, m0, 0.5, m0               ; encoding: [0x05,0x00,0x24,0xd6,0x7d,0xe0,0xf5,0x01]

v_sad_u16 v5, exec_lo, -1, vcc_hi
// GFX13: v_sad_u16 v5, exec_lo, -1, vcc_hi       ; encoding: [0x05,0x00,0x24,0xd6,0x7e,0x82,0xad,0x01]

v_sad_u16 v5, exec_hi, null, vcc_lo
// GFX13: v_sad_u16 v5, exec_hi, null, vcc_lo     ; encoding: [0x05,0x00,0x24,0xd6,0x7f,0xf8,0xa8,0x01]

v_sad_u16 v5, null, exec_lo, 0xaf123456
// GFX13: v_sad_u16 v5, null, exec_lo, 0xaf123456 ; encoding: [0x05,0x00,0x24,0xd6,0x7c,0xfc,0xfc,0x03,0x56,0x34,0x12,0xaf]

v_sad_u16 v5, -1, exec_hi, src_scc
// GFX13: v_sad_u16 v5, -1, exec_hi, src_scc      ; encoding: [0x05,0x00,0x24,0xd6,0xc1,0xfe,0xf4,0x03]

v_sad_u16 v5, 0.5, m0, 0.5
// GFX13: v_sad_u16 v5, 0.5, m0, 0.5              ; encoding: [0x05,0x00,0x24,0xd6,0xf0,0xfa,0xc0,0x03]

v_sad_u16 v5, src_scc, vcc_lo, -1
// GFX13: v_sad_u16 v5, src_scc, vcc_lo, -1       ; encoding: [0x05,0x00,0x24,0xd6,0xfd,0xd4,0x04,0x03]

v_sad_u16 v255, 0xfe0b, vcc_hi, null clamp
// GFX13: v_sad_u16 v255, 0xfe0b, vcc_hi, null clamp ; encoding: [0xff,0x80,0x24,0xd6,0xff,0xd6,0xf0,0x01,0x0b,0xfe,0x00,0x00]

v_sad_u32 v5, v1, v2, s3
// GFX13: v_sad_u32 v5, v1, v2, s3                ; encoding: [0x05,0x00,0x25,0xd6,0x01,0x05,0x0e,0x00]

v_sad_u32 v5, v255, s2, s105
// GFX13: v_sad_u32 v5, v255, s2, s105            ; encoding: [0x05,0x00,0x25,0xd6,0xff,0x05,0xa4,0x01]

v_sad_u32 v5, s1, v255, exec_hi
// GFX13: v_sad_u32 v5, s1, v255, exec_hi         ; encoding: [0x05,0x00,0x25,0xd6,0x01,0xfe,0xff,0x01]

v_sad_u32 v5, s105, s105, exec_lo
// GFX13: v_sad_u32 v5, s105, s105, exec_lo       ; encoding: [0x05,0x00,0x25,0xd6,0x69,0xd2,0xf8,0x01]

v_sad_u32 v5, vcc_lo, ttmp15, v3
// GFX13: v_sad_u32 v5, vcc_lo, ttmp15, v3        ; encoding: [0x05,0x00,0x25,0xd6,0x6a,0xf6,0x0c,0x04]

v_sad_u32 v5, vcc_hi, 0xaf123456, v255
// GFX13: v_sad_u32 v5, vcc_hi, 0xaf123456, v255  ; encoding: [0x05,0x00,0x25,0xd6,0x6b,0xfe,0xfd,0x07,0x56,0x34,0x12,0xaf]

v_sad_u32 v5, ttmp15, src_scc, ttmp15
// GFX13: v_sad_u32 v5, ttmp15, src_scc, ttmp15   ; encoding: [0x05,0x00,0x25,0xd6,0x7b,0xfa,0xed,0x01]

v_sad_u32 v5, m0, 0.5, m0
// GFX13: v_sad_u32 v5, m0, 0.5, m0               ; encoding: [0x05,0x00,0x25,0xd6,0x7d,0xe0,0xf5,0x01]

v_sad_u32 v5, exec_lo, -1, vcc_hi
// GFX13: v_sad_u32 v5, exec_lo, -1, vcc_hi       ; encoding: [0x05,0x00,0x25,0xd6,0x7e,0x82,0xad,0x01]

v_sad_u32 v5, exec_hi, null, vcc_lo
// GFX13: v_sad_u32 v5, exec_hi, null, vcc_lo     ; encoding: [0x05,0x00,0x25,0xd6,0x7f,0xf8,0xa8,0x01]

v_sad_u32 v5, null, exec_lo, 0xaf123456
// GFX13: v_sad_u32 v5, null, exec_lo, 0xaf123456 ; encoding: [0x05,0x00,0x25,0xd6,0x7c,0xfc,0xfc,0x03,0x56,0x34,0x12,0xaf]

v_sad_u32 v5, -1, exec_hi, src_scc
// GFX13: v_sad_u32 v5, -1, exec_hi, src_scc      ; encoding: [0x05,0x00,0x25,0xd6,0xc1,0xfe,0xf4,0x03]

v_sad_u32 v5, 0.5, m0, 0.5
// GFX13: v_sad_u32 v5, 0.5, m0, 0.5              ; encoding: [0x05,0x00,0x25,0xd6,0xf0,0xfa,0xc0,0x03]

v_sad_u32 v5, src_scc, vcc_lo, -1
// GFX13: v_sad_u32 v5, src_scc, vcc_lo, -1       ; encoding: [0x05,0x00,0x25,0xd6,0xfd,0xd4,0x04,0x03]

v_sad_u32 v255, 0xaf123456, vcc_hi, null clamp
// GFX13: v_sad_u32 v255, 0xaf123456, vcc_hi, null clamp ; encoding: [0xff,0x80,0x25,0xd6,0xff,0xd6,0xf0,0x01,0x56,0x34,0x12,0xaf]

v_sad_u8 v5, v1, v2, s3
// GFX13: v_sad_u8 v5, v1, v2, s3                 ; encoding: [0x05,0x00,0x22,0xd6,0x01,0x05,0x0e,0x00]

v_sad_u8 v5, v255, s2, s105
// GFX13: v_sad_u8 v5, v255, s2, s105             ; encoding: [0x05,0x00,0x22,0xd6,0xff,0x05,0xa4,0x01]

v_sad_u8 v5, s1, v255, exec_hi
// GFX13: v_sad_u8 v5, s1, v255, exec_hi          ; encoding: [0x05,0x00,0x22,0xd6,0x01,0xfe,0xff,0x01]

v_sad_u8 v5, s105, s105, exec_lo
// GFX13: v_sad_u8 v5, s105, s105, exec_lo        ; encoding: [0x05,0x00,0x22,0xd6,0x69,0xd2,0xf8,0x01]

v_sad_u8 v5, vcc_lo, ttmp15, v3
// GFX13: v_sad_u8 v5, vcc_lo, ttmp15, v3         ; encoding: [0x05,0x00,0x22,0xd6,0x6a,0xf6,0x0c,0x04]

v_sad_u8 v5, vcc_hi, 0xaf123456, v255
// GFX13: v_sad_u8 v5, vcc_hi, 0xaf123456, v255   ; encoding: [0x05,0x00,0x22,0xd6,0x6b,0xfe,0xfd,0x07,0x56,0x34,0x12,0xaf]

v_sad_u8 v5, ttmp15, src_scc, ttmp15
// GFX13: v_sad_u8 v5, ttmp15, src_scc, ttmp15    ; encoding: [0x05,0x00,0x22,0xd6,0x7b,0xfa,0xed,0x01]

v_sad_u8 v5, m0, 0.5, m0
// GFX13: v_sad_u8 v5, m0, 0.5, m0                ; encoding: [0x05,0x00,0x22,0xd6,0x7d,0xe0,0xf5,0x01]

v_sad_u8 v5, exec_lo, -1, vcc_hi
// GFX13: v_sad_u8 v5, exec_lo, -1, vcc_hi        ; encoding: [0x05,0x00,0x22,0xd6,0x7e,0x82,0xad,0x01]

v_sad_u8 v5, exec_hi, null, vcc_lo
// GFX13: v_sad_u8 v5, exec_hi, null, vcc_lo      ; encoding: [0x05,0x00,0x22,0xd6,0x7f,0xf8,0xa8,0x01]

v_sad_u8 v5, null, exec_lo, 0xaf123456
// GFX13: v_sad_u8 v5, null, exec_lo, 0xaf123456  ; encoding: [0x05,0x00,0x22,0xd6,0x7c,0xfc,0xfc,0x03,0x56,0x34,0x12,0xaf]

v_sad_u8 v5, -1, exec_hi, src_scc
// GFX13: v_sad_u8 v5, -1, exec_hi, src_scc       ; encoding: [0x05,0x00,0x22,0xd6,0xc1,0xfe,0xf4,0x03]

v_sad_u8 v5, 0.5, m0, 0.5
// GFX13: v_sad_u8 v5, 0.5, m0, 0.5               ; encoding: [0x05,0x00,0x22,0xd6,0xf0,0xfa,0xc0,0x03]

v_sad_u8 v5, src_scc, vcc_lo, -1
// GFX13: v_sad_u8 v5, src_scc, vcc_lo, -1        ; encoding: [0x05,0x00,0x22,0xd6,0xfd,0xd4,0x04,0x03]

v_sad_u8 v255, 0xaf123456, vcc_hi, null clamp
// GFX13: v_sad_u8 v255, 0xaf123456, vcc_hi, null clamp ; encoding: [0xff,0x80,0x22,0xd6,0xff,0xd6,0xf0,0x01,0x56,0x34,0x12,0xaf]

v_sub_co_u32 v5, s6, v1, v2
// W32: v_sub_co_u32 v5, s6, v1, v2             ; encoding: [0x05,0x06,0x10,0xd7,0x01,0x05,0x02,0x02]
// W64-ERR: :[[@LINE-2]]:18: error: invalid operand for instruction

v_sub_co_u32 v5, s6, v255, v255
// W32: v_sub_co_u32 v5, s6, v255, v255         ; encoding: [0x05,0x06,0x10,0xd7,0xff,0xff,0x03,0x02]
// W64-ERR: :[[@LINE-2]]:18: error: invalid operand for instruction

v_sub_co_u32 v5, s6, s1, s2
// W32: v_sub_co_u32 v5, s6, s1, s2             ; encoding: [0x05,0x06,0x10,0xd7,0x01,0x04,0x00,0x02]
// W64-ERR: :[[@LINE-2]]:18: error: invalid operand for instruction

v_sub_co_u32 v5, s6, s105, s105
// W32: v_sub_co_u32 v5, s6, s105, s105         ; encoding: [0x05,0x06,0x10,0xd7,0x69,0xd2,0x00,0x02]
// W64-ERR: :[[@LINE-2]]:18: error: invalid operand for instruction

v_sub_co_u32 v5, s6, vcc_lo, ttmp15
// W32: v_sub_co_u32 v5, s6, vcc_lo, ttmp15     ; encoding: [0x05,0x06,0x10,0xd7,0x6a,0xf6,0x00,0x02]
// W64-ERR: :[[@LINE-2]]:18: error: invalid operand for instruction

v_sub_co_u32 v5, s6, vcc_hi, 0xaf123456
// W32: v_sub_co_u32 v5, s6, vcc_hi, 0xaf123456 ; encoding: [0x05,0x06,0x10,0xd7,0x6b,0xfe,0x01,0x02,0x56,0x34,0x12,0xaf]
// W64-ERR: :[[@LINE-2]]:18: error: invalid operand for instruction

v_sub_co_u32 v5, s6, ttmp15, src_scc
// W32: v_sub_co_u32 v5, s6, ttmp15, src_scc    ; encoding: [0x05,0x06,0x10,0xd7,0x7b,0xfa,0x01,0x02]
// W64-ERR: :[[@LINE-2]]:18: error: invalid operand for instruction

v_sub_co_u32 v5, s6, m0, 0.5
// W32: v_sub_co_u32 v5, s6, m0, 0.5            ; encoding: [0x05,0x06,0x10,0xd7,0x7d,0xe0,0x01,0x02]
// W64-ERR: :[[@LINE-2]]:18: error: invalid operand for instruction

v_sub_co_u32 v5, s6, exec_lo, -1
// W32: v_sub_co_u32 v5, s6, exec_lo, -1        ; encoding: [0x05,0x06,0x10,0xd7,0x7e,0x82,0x01,0x02]
// W64-ERR: :[[@LINE-2]]:18: error: invalid operand for instruction

v_sub_co_u32 v5, s6, exec_hi, null
// W32: v_sub_co_u32 v5, s6, exec_hi, null      ; encoding: [0x05,0x06,0x10,0xd7,0x7f,0xf8,0x00,0x02]
// W64-ERR: :[[@LINE-2]]:18: error: invalid operand for instruction

v_sub_co_u32 v5, s105, null, exec_lo
// W32: v_sub_co_u32 v5, s105, null, exec_lo    ; encoding: [0x05,0x69,0x10,0xd7,0x7c,0xfc,0x00,0x02]
// W64-ERR: :[[@LINE-2]]:18: error: invalid operand for instruction

v_sub_co_u32 v5, vcc_lo, -1, exec_hi
// W32: v_sub_co_u32 v5, vcc_lo, -1, exec_hi    ; encoding: [0x05,0x6a,0x10,0xd7,0xc1,0xfe,0x00,0x02]
// W64-ERR: :[[@LINE-2]]:18: error: invalid operand for instruction

v_sub_co_u32 v5, vcc_hi, 0.5, m0
// W32: v_sub_co_u32 v5, vcc_hi, 0.5, m0        ; encoding: [0x05,0x6b,0x10,0xd7,0xf0,0xfa,0x00,0x02]
// W64-ERR: :[[@LINE-2]]:18: error: invalid operand for instruction

v_sub_co_u32 v5, ttmp15, src_scc, vcc_lo
// W32: v_sub_co_u32 v5, ttmp15, src_scc, vcc_lo ; encoding: [0x05,0x7b,0x10,0xd7,0xfd,0xd4,0x00,0x02]
// W64-ERR: :[[@LINE-2]]:18: error: invalid operand for instruction

v_sub_co_u32 v5, s[12:13], v1, v2
// W32-ERR: :[[@LINE-1]]:18: error: invalid operand for instruction
// W64: v_sub_co_u32 v5, s[12:13], v1, v2       ; encoding: [0x05,0x0c,0x10,0xd7,0x01,0x05,0x02,0x02]

v_sub_co_u32 v5, s[12:13], v255, v255
// W32-ERR: :[[@LINE-1]]:18: error: invalid operand for instruction
// W64: v_sub_co_u32 v5, s[12:13], v255, v255   ; encoding: [0x05,0x0c,0x10,0xd7,0xff,0xff,0x03,0x02]

v_sub_co_u32 v5, s[12:13], s1, s2
// W32-ERR: :[[@LINE-1]]:18: error: invalid operand for instruction
// W64: v_sub_co_u32 v5, s[12:13], s1, s2       ; encoding: [0x05,0x0c,0x10,0xd7,0x01,0x04,0x00,0x02]

v_sub_co_u32 v5, s[12:13], s105, s105
// W32-ERR: :[[@LINE-1]]:18: error: invalid operand for instruction
// W64: v_sub_co_u32 v5, s[12:13], s105, s105   ; encoding: [0x05,0x0c,0x10,0xd7,0x69,0xd2,0x00,0x02]

v_sub_co_u32 v5, s[12:13], vcc_lo, ttmp15
// W32-ERR: :[[@LINE-1]]:18: error: invalid operand for instruction
// W64: v_sub_co_u32 v5, s[12:13], vcc_lo, ttmp15 ; encoding: [0x05,0x0c,0x10,0xd7,0x6a,0xf6,0x00,0x02]

v_sub_co_u32 v5, s[12:13], vcc_hi, 0xaf123456
// W32-ERR: :[[@LINE-1]]:18: error: invalid operand for instruction
// W64: v_sub_co_u32 v5, s[12:13], vcc_hi, 0xaf123456 ; encoding: [0x05,0x0c,0x10,0xd7,0x6b,0xfe,0x01,0x02,0x56,0x34,0x12,0xaf]

v_sub_co_u32 v5, s[12:13], ttmp15, src_scc
// W32-ERR: :[[@LINE-1]]:18: error: invalid operand for instruction
// W64: v_sub_co_u32 v5, s[12:13], ttmp15, src_scc ; encoding: [0x05,0x0c,0x10,0xd7,0x7b,0xfa,0x01,0x02]

v_sub_co_u32 v5, s[12:13], m0, 0.5
// W32-ERR: :[[@LINE-1]]:18: error: invalid operand for instruction
// W64: v_sub_co_u32 v5, s[12:13], m0, 0.5      ; encoding: [0x05,0x0c,0x10,0xd7,0x7d,0xe0,0x01,0x02]

v_sub_co_u32 v5, s[12:13], exec_lo, -1
// W32-ERR: :[[@LINE-1]]:18: error: invalid operand for instruction
// W64: v_sub_co_u32 v5, s[12:13], exec_lo, -1  ; encoding: [0x05,0x0c,0x10,0xd7,0x7e,0x82,0x01,0x02]

v_sub_co_u32 v5, s[12:13], exec_hi, null
// W32-ERR: :[[@LINE-1]]:18: error: invalid operand for instruction
// W64: v_sub_co_u32 v5, s[12:13], exec_hi, null ; encoding: [0x05,0x0c,0x10,0xd7,0x7f,0xf8,0x00,0x02]

v_sub_co_u32 v5, s[12:13], null, exec_lo
// W32-ERR: :[[@LINE-1]]:18: error: invalid operand for instruction
// W64: v_sub_co_u32 v5, s[12:13], null, exec_lo ; encoding: [0x05,0x0c,0x10,0xd7,0x7c,0xfc,0x00,0x02]

v_sub_co_u32 v5, s[104:105], -1, exec_hi
// W32-ERR: :[[@LINE-1]]:18: error: invalid operand for instruction
// W64: v_sub_co_u32 v5, s[104:105], -1, exec_hi ; encoding: [0x05,0x68,0x10,0xd7,0xc1,0xfe,0x00,0x02]

v_sub_co_u32 v5, vcc, 0.5, m0
// W32-ERR: :[[@LINE-1]]:1: error: operands are not valid for this GPU or mode
// W64: v_sub_co_u32 v5, vcc, 0.5, m0           ; encoding: [0x05,0x6a,0x10,0xd7,0xf0,0xfa,0x00,0x02]

v_sub_co_u32 v5, ttmp[14:15], src_scc, vcc_lo
// W32-ERR: :[[@LINE-1]]:18: error: invalid operand for instruction
// W64: v_sub_co_u32 v5, ttmp[14:15], src_scc, vcc_lo ; encoding: [0x05,0x7a,0x10,0xd7,0xfd,0xd4,0x00,0x02]

v_sub_co_u32 v255, null, 0xaf123456, vcc_hi clamp
// GFX13: v_sub_co_u32 v255, null, 0xaf123456, vcc_hi clamp ; encoding: [0xff,0xfc,0x10,0xd7,0xff,0xd6,0x00,0x02,0x56,0x34,0x12,0xaf]

v_sub_nc_i16 v5, v1, v2
// GFX13: v_sub_nc_i16 v5, v1, v2                 ; encoding: [0x05,0x00,0x0e,0xd7,0x01,0x05,0x02,0x02]

v_sub_nc_i16 v5, v255, v255
// GFX13: v_sub_nc_i16 v5, v255, v255             ; encoding: [0x05,0x00,0x0e,0xd7,0xff,0xff,0x03,0x02]

v_sub_nc_i16 v5, s1, s2
// GFX13: v_sub_nc_i16 v5, s1, s2                 ; encoding: [0x05,0x00,0x0e,0xd7,0x01,0x04,0x00,0x02]

v_sub_nc_i16 v5, s105, s105
// GFX13: v_sub_nc_i16 v5, s105, s105             ; encoding: [0x05,0x00,0x0e,0xd7,0x69,0xd2,0x00,0x02]

v_sub_nc_i16 v5, vcc_lo, ttmp15
// GFX13: v_sub_nc_i16 v5, vcc_lo, ttmp15         ; encoding: [0x05,0x00,0x0e,0xd7,0x6a,0xf6,0x00,0x02]

v_sub_nc_i16 v5, vcc_hi, 0xfe0b
// GFX13: v_sub_nc_i16 v5, vcc_hi, 0xfe0b         ; encoding: [0x05,0x00,0x0e,0xd7,0x6b,0xfe,0x01,0x02,0x0b,0xfe,0x00,0x00]

v_sub_nc_i16 v5, ttmp15, src_scc
// GFX13: v_sub_nc_i16 v5, ttmp15, src_scc        ; encoding: [0x05,0x00,0x0e,0xd7,0x7b,0xfa,0x01,0x02]

v_sub_nc_i16 v5, m0, 0.5
// GFX13: v_sub_nc_i16 v5, m0, 0.5                ; encoding: [0x05,0x00,0x0e,0xd7,0x7d,0xe0,0x01,0x02]

v_sub_nc_i16 v5, exec_lo, -1
// GFX13: v_sub_nc_i16 v5, exec_lo, -1            ; encoding: [0x05,0x00,0x0e,0xd7,0x7e,0x82,0x01,0x02]

v_sub_nc_i16 v5, exec_hi, null
// GFX13: v_sub_nc_i16 v5, exec_hi, null          ; encoding: [0x05,0x00,0x0e,0xd7,0x7f,0xf8,0x00,0x02]

v_sub_nc_i16 v5, null, exec_lo op_sel:[1,1,1]
// GFX13: v_sub_nc_i16 v5, null, exec_lo op_sel:[1,1,1] ; encoding: [0x05,0x58,0x0e,0xd7,0x7c,0xfc,0x00,0x02]

v_sub_nc_i16 v5, -1, exec_hi op_sel:[0,0,0]
// GFX13: v_sub_nc_i16 v5, -1, exec_hi            ; encoding: [0x05,0x00,0x0e,0xd7,0xc1,0xfe,0x00,0x02]

v_sub_nc_i16 v5, 0.5, m0 op_sel:[1,0,0]
// GFX13: v_sub_nc_i16 v5, 0.5, m0 op_sel:[1,0,0] ; encoding: [0x05,0x08,0x0e,0xd7,0xf0,0xfa,0x00,0x02]

v_sub_nc_i16 v5, src_scc, vcc_lo op_sel:[0,1,0]
// GFX13: v_sub_nc_i16 v5, src_scc, vcc_lo op_sel:[0,1,0] ; encoding: [0x05,0x10,0x0e,0xd7,0xfd,0xd4,0x00,0x02]

v_sub_nc_i16 v255, 0xfe0b, vcc_hi op_sel:[0,0,1] clamp
// GFX13: v_sub_nc_i16 v255, 0xfe0b, vcc_hi op_sel:[0,0,1] clamp ; encoding: [0xff,0xc0,0x0e,0xd7,0xff,0xd6,0x00,0x02,0x0b,0xfe,0x00,0x00]

v_sub_nc_i32 v5, v1, v2
// GFX13: v_sub_nc_i32 v5, v1, v2                 ; encoding: [0x05,0x00,0x76,0xd7,0x01,0x05,0x02,0x02]

v_sub_nc_i32 v5, v255, v255
// GFX13: v_sub_nc_i32 v5, v255, v255             ; encoding: [0x05,0x00,0x76,0xd7,0xff,0xff,0x03,0x02]

v_sub_nc_i32 v5, s1, s2
// GFX13: v_sub_nc_i32 v5, s1, s2                 ; encoding: [0x05,0x00,0x76,0xd7,0x01,0x04,0x00,0x02]

v_sub_nc_i32 v5, s105, s105
// GFX13: v_sub_nc_i32 v5, s105, s105             ; encoding: [0x05,0x00,0x76,0xd7,0x69,0xd2,0x00,0x02]

v_sub_nc_i32 v5, vcc_lo, ttmp15
// GFX13: v_sub_nc_i32 v5, vcc_lo, ttmp15         ; encoding: [0x05,0x00,0x76,0xd7,0x6a,0xf6,0x00,0x02]

v_sub_nc_i32 v5, vcc_hi, 0xaf123456
// GFX13: v_sub_nc_i32 v5, vcc_hi, 0xaf123456     ; encoding: [0x05,0x00,0x76,0xd7,0x6b,0xfe,0x01,0x02,0x56,0x34,0x12,0xaf]

v_sub_nc_i32 v5, ttmp15, src_scc
// GFX13: v_sub_nc_i32 v5, ttmp15, src_scc        ; encoding: [0x05,0x00,0x76,0xd7,0x7b,0xfa,0x01,0x02]

v_sub_nc_i32 v5, m0, 0.5
// GFX13: v_sub_nc_i32 v5, m0, 0.5                ; encoding: [0x05,0x00,0x76,0xd7,0x7d,0xe0,0x01,0x02]

v_sub_nc_i32 v5, exec_lo, -1
// GFX13: v_sub_nc_i32 v5, exec_lo, -1            ; encoding: [0x05,0x00,0x76,0xd7,0x7e,0x82,0x01,0x02]

v_sub_nc_i32 v5, exec_hi, null
// GFX13: v_sub_nc_i32 v5, exec_hi, null          ; encoding: [0x05,0x00,0x76,0xd7,0x7f,0xf8,0x00,0x02]

v_sub_nc_i32 v5, null, exec_lo
// GFX13: v_sub_nc_i32 v5, null, exec_lo          ; encoding: [0x05,0x00,0x76,0xd7,0x7c,0xfc,0x00,0x02]

v_sub_nc_i32 v5, -1, exec_hi
// GFX13: v_sub_nc_i32 v5, -1, exec_hi            ; encoding: [0x05,0x00,0x76,0xd7,0xc1,0xfe,0x00,0x02]

v_sub_nc_i32 v5, 0.5, m0
// GFX13: v_sub_nc_i32 v5, 0.5, m0                ; encoding: [0x05,0x00,0x76,0xd7,0xf0,0xfa,0x00,0x02]

v_sub_nc_i32 v5, src_scc, vcc_lo
// GFX13: v_sub_nc_i32 v5, src_scc, vcc_lo        ; encoding: [0x05,0x00,0x76,0xd7,0xfd,0xd4,0x00,0x02]

v_sub_nc_i32 v255, 0xaf123456, vcc_hi clamp
// GFX13: v_sub_nc_i32 v255, 0xaf123456, vcc_hi clamp ; encoding: [0xff,0x80,0x76,0xd7,0xff,0xd6,0x00,0x02,0x56,0x34,0x12,0xaf]

v_sub_nc_u16 v5, v1, v2
// GFX13: v_sub_nc_u16 v5, v1, v2                 ; encoding: [0x05,0x00,0x04,0xd7,0x01,0x05,0x02,0x02]

v_sub_nc_u16 v5, v255, v255
// GFX13: v_sub_nc_u16 v5, v255, v255             ; encoding: [0x05,0x00,0x04,0xd7,0xff,0xff,0x03,0x02]

v_sub_nc_u16 v5, s1, s2
// GFX13: v_sub_nc_u16 v5, s1, s2                 ; encoding: [0x05,0x00,0x04,0xd7,0x01,0x04,0x00,0x02]

v_sub_nc_u16 v5, s105, s105
// GFX13: v_sub_nc_u16 v5, s105, s105             ; encoding: [0x05,0x00,0x04,0xd7,0x69,0xd2,0x00,0x02]

v_sub_nc_u16 v5, vcc_lo, ttmp15
// GFX13: v_sub_nc_u16 v5, vcc_lo, ttmp15         ; encoding: [0x05,0x00,0x04,0xd7,0x6a,0xf6,0x00,0x02]

v_sub_nc_u16 v5, vcc_hi, 0xfe0b
// GFX13: v_sub_nc_u16 v5, vcc_hi, 0xfe0b         ; encoding: [0x05,0x00,0x04,0xd7,0x6b,0xfe,0x01,0x02,0x0b,0xfe,0x00,0x00]

v_sub_nc_u16 v5, ttmp15, src_scc
// GFX13: v_sub_nc_u16 v5, ttmp15, src_scc        ; encoding: [0x05,0x00,0x04,0xd7,0x7b,0xfa,0x01,0x02]

v_sub_nc_u16 v5, m0, 0.5
// GFX13: v_sub_nc_u16 v5, m0, 0.5                ; encoding: [0x05,0x00,0x04,0xd7,0x7d,0xe0,0x01,0x02]

v_sub_nc_u16 v5, exec_lo, -1
// GFX13: v_sub_nc_u16 v5, exec_lo, -1            ; encoding: [0x05,0x00,0x04,0xd7,0x7e,0x82,0x01,0x02]

v_sub_nc_u16 v5, exec_hi, null
// GFX13: v_sub_nc_u16 v5, exec_hi, null          ; encoding: [0x05,0x00,0x04,0xd7,0x7f,0xf8,0x00,0x02]

v_sub_nc_u16 v5, null, exec_lo op_sel:[1,1,1]
// GFX13: v_sub_nc_u16 v5, null, exec_lo op_sel:[1,1,1] ; encoding: [0x05,0x58,0x04,0xd7,0x7c,0xfc,0x00,0x02]

v_sub_nc_u16 v5, -1, exec_hi op_sel:[0,0,0]
// GFX13: v_sub_nc_u16 v5, -1, exec_hi            ; encoding: [0x05,0x00,0x04,0xd7,0xc1,0xfe,0x00,0x02]

v_sub_nc_u16 v5, 0.5, m0 op_sel:[1,0,0]
// GFX13: v_sub_nc_u16 v5, 0.5, m0 op_sel:[1,0,0] ; encoding: [0x05,0x08,0x04,0xd7,0xf0,0xfa,0x00,0x02]

v_sub_nc_u16 v5, src_scc, vcc_lo op_sel:[0,1,0]
// GFX13: v_sub_nc_u16 v5, src_scc, vcc_lo op_sel:[0,1,0] ; encoding: [0x05,0x10,0x04,0xd7,0xfd,0xd4,0x00,0x02]

v_sub_nc_u16 v255, 0xfe0b, vcc_hi op_sel:[0,0,1] clamp
// GFX13: v_sub_nc_u16 v255, 0xfe0b, vcc_hi op_sel:[0,0,1] clamp ; encoding: [0xff,0xc0,0x04,0xd7,0xff,0xd6,0x00,0x02,0x0b,0xfe,0x00,0x00]

v_subrev_co_u32 v5, s6, v1, v2
// W32: v_subrev_co_u32 v5, s6, v1, v2          ; encoding: [0x05,0x06,0x19,0xd7,0x01,0x05,0x02,0x02]
// W64-ERR: :[[@LINE-2]]:21: error: invalid operand for instruction

v_subrev_co_u32 v5, s6, v255, v255
// W32: v_subrev_co_u32 v5, s6, v255, v255      ; encoding: [0x05,0x06,0x19,0xd7,0xff,0xff,0x03,0x02]
// W64-ERR: :[[@LINE-2]]:21: error: invalid operand for instruction

v_subrev_co_u32 v5, s6, s1, s2
// W32: v_subrev_co_u32 v5, s6, s1, s2          ; encoding: [0x05,0x06,0x19,0xd7,0x01,0x04,0x00,0x02]
// W64-ERR: :[[@LINE-2]]:21: error: invalid operand for instruction

v_subrev_co_u32 v5, s6, s105, s105
// W32: v_subrev_co_u32 v5, s6, s105, s105      ; encoding: [0x05,0x06,0x19,0xd7,0x69,0xd2,0x00,0x02]
// W64-ERR: :[[@LINE-2]]:21: error: invalid operand for instruction

v_subrev_co_u32 v5, s6, vcc_lo, ttmp15
// W32: v_subrev_co_u32 v5, s6, vcc_lo, ttmp15  ; encoding: [0x05,0x06,0x19,0xd7,0x6a,0xf6,0x00,0x02]
// W64-ERR: :[[@LINE-2]]:21: error: invalid operand for instruction

v_subrev_co_u32 v5, s6, vcc_hi, 0xaf123456
// W32: v_subrev_co_u32 v5, s6, vcc_hi, 0xaf123456 ; encoding: [0x05,0x06,0x19,0xd7,0x6b,0xfe,0x01,0x02,0x56,0x34,0x12,0xaf]
// W64-ERR: :[[@LINE-2]]:21: error: invalid operand for instruction

v_subrev_co_u32 v5, s6, ttmp15, src_scc
// W32: v_subrev_co_u32 v5, s6, ttmp15, src_scc ; encoding: [0x05,0x06,0x19,0xd7,0x7b,0xfa,0x01,0x02]
// W64-ERR: :[[@LINE-2]]:21: error: invalid operand for instruction

v_subrev_co_u32 v5, s6, m0, 0.5
// W32: v_subrev_co_u32 v5, s6, m0, 0.5         ; encoding: [0x05,0x06,0x19,0xd7,0x7d,0xe0,0x01,0x02]
// W64-ERR: :[[@LINE-2]]:21: error: invalid operand for instruction

v_subrev_co_u32 v5, s6, exec_lo, -1
// W32: v_subrev_co_u32 v5, s6, exec_lo, -1     ; encoding: [0x05,0x06,0x19,0xd7,0x7e,0x82,0x01,0x02]
// W64-ERR: :[[@LINE-2]]:21: error: invalid operand for instruction

v_subrev_co_u32 v5, s6, exec_hi, null
// W32: v_subrev_co_u32 v5, s6, exec_hi, null   ; encoding: [0x05,0x06,0x19,0xd7,0x7f,0xf8,0x00,0x02]
// W64-ERR: :[[@LINE-2]]:21: error: invalid operand for instruction

v_subrev_co_u32 v5, s105, null, exec_lo
// W32: v_subrev_co_u32 v5, s105, null, exec_lo ; encoding: [0x05,0x69,0x19,0xd7,0x7c,0xfc,0x00,0x02]
// W64-ERR: :[[@LINE-2]]:21: error: invalid operand for instruction

v_subrev_co_u32 v5, vcc_lo, -1, exec_hi
// W32: v_subrev_co_u32 v5, vcc_lo, -1, exec_hi ; encoding: [0x05,0x6a,0x19,0xd7,0xc1,0xfe,0x00,0x02]
// W64-ERR: :[[@LINE-2]]:21: error: invalid operand for instruction

v_subrev_co_u32 v5, vcc_hi, 0.5, m0
// W32: v_subrev_co_u32 v5, vcc_hi, 0.5, m0     ; encoding: [0x05,0x6b,0x19,0xd7,0xf0,0xfa,0x00,0x02]
// W64-ERR: :[[@LINE-2]]:21: error: invalid operand for instruction

v_subrev_co_u32 v5, ttmp15, src_scc, vcc_lo
// W32: v_subrev_co_u32 v5, ttmp15, src_scc, vcc_lo ; encoding: [0x05,0x7b,0x19,0xd7,0xfd,0xd4,0x00,0x02]
// W64-ERR: :[[@LINE-2]]:21: error: invalid operand for instruction

v_subrev_co_u32 v5, s[12:13], v1, v2
// W32-ERR: :[[@LINE-1]]:21: error: invalid operand for instruction
// W64: v_subrev_co_u32 v5, s[12:13], v1, v2    ; encoding: [0x05,0x0c,0x19,0xd7,0x01,0x05,0x02,0x02]

v_subrev_co_u32 v5, s[12:13], v255, v255
// W32-ERR: :[[@LINE-1]]:21: error: invalid operand for instruction
// W64: v_subrev_co_u32 v5, s[12:13], v255, v255 ; encoding: [0x05,0x0c,0x19,0xd7,0xff,0xff,0x03,0x02]

v_subrev_co_u32 v5, s[12:13], s1, s2
// W32-ERR: :[[@LINE-1]]:21: error: invalid operand for instruction
// W64: v_subrev_co_u32 v5, s[12:13], s1, s2    ; encoding: [0x05,0x0c,0x19,0xd7,0x01,0x04,0x00,0x02]

v_subrev_co_u32 v5, s[12:13], s105, s105
// W32-ERR: :[[@LINE-1]]:21: error: invalid operand for instruction
// W64: v_subrev_co_u32 v5, s[12:13], s105, s105 ; encoding: [0x05,0x0c,0x19,0xd7,0x69,0xd2,0x00,0x02]

v_subrev_co_u32 v5, s[12:13], vcc_lo, ttmp15
// W32-ERR: :[[@LINE-1]]:21: error: invalid operand for instruction
// W64: v_subrev_co_u32 v5, s[12:13], vcc_lo, ttmp15 ; encoding: [0x05,0x0c,0x19,0xd7,0x6a,0xf6,0x00,0x02]

v_subrev_co_u32 v5, s[12:13], vcc_hi, 0xaf123456
// W32-ERR: :[[@LINE-1]]:21: error: invalid operand for instruction
// W64: v_subrev_co_u32 v5, s[12:13], vcc_hi, 0xaf123456 ; encoding: [0x05,0x0c,0x19,0xd7,0x6b,0xfe,0x01,0x02,0x56,0x34,0x12,0xaf]

v_subrev_co_u32 v5, s[12:13], ttmp15, src_scc
// W32-ERR: :[[@LINE-1]]:21: error: invalid operand for instruction
// W64: v_subrev_co_u32 v5, s[12:13], ttmp15, src_scc ; encoding: [0x05,0x0c,0x19,0xd7,0x7b,0xfa,0x01,0x02]

v_subrev_co_u32 v5, s[12:13], m0, 0.5
// W32-ERR: :[[@LINE-1]]:21: error: invalid operand for instruction
// W64: v_subrev_co_u32 v5, s[12:13], m0, 0.5   ; encoding: [0x05,0x0c,0x19,0xd7,0x7d,0xe0,0x01,0x02]

v_subrev_co_u32 v5, s[12:13], exec_lo, -1
// W32-ERR: :[[@LINE-1]]:21: error: invalid operand for instruction
// W64: v_subrev_co_u32 v5, s[12:13], exec_lo, -1 ; encoding: [0x05,0x0c,0x19,0xd7,0x7e,0x82,0x01,0x02]

v_subrev_co_u32 v5, s[12:13], exec_hi, null
// W32-ERR: :[[@LINE-1]]:21: error: invalid operand for instruction
// W64: v_subrev_co_u32 v5, s[12:13], exec_hi, null ; encoding: [0x05,0x0c,0x19,0xd7,0x7f,0xf8,0x00,0x02]

v_subrev_co_u32 v5, s[12:13], null, exec_lo
// W32-ERR: :[[@LINE-1]]:21: error: invalid operand for instruction
// W64: v_subrev_co_u32 v5, s[12:13], null, exec_lo ; encoding: [0x05,0x0c,0x19,0xd7,0x7c,0xfc,0x00,0x02]

v_subrev_co_u32 v5, s[104:105], -1, exec_hi
// W32-ERR: :[[@LINE-1]]:21: error: invalid operand for instruction
// W64: v_subrev_co_u32 v5, s[104:105], -1, exec_hi ; encoding: [0x05,0x68,0x19,0xd7,0xc1,0xfe,0x00,0x02]

v_subrev_co_u32 v5, vcc, 0.5, m0
// W32-ERR: :[[@LINE-1]]:1: error: operands are not valid for this GPU or mode
// W64: v_subrev_co_u32 v5, vcc, 0.5, m0        ; encoding: [0x05,0x6a,0x19,0xd7,0xf0,0xfa,0x00,0x02]

v_subrev_co_u32 v5, ttmp[14:15], src_scc, vcc_lo
// W32-ERR: :[[@LINE-1]]:21: error: invalid operand for instruction
// W64: v_subrev_co_u32 v5, ttmp[14:15], src_scc, vcc_lo ; encoding: [0x05,0x7a,0x19,0xd7,0xfd,0xd4,0x00,0x02]

v_subrev_co_u32 v255, null, 0xaf123456, vcc_hi clamp
// GFX13: v_subrev_co_u32 v255, null, 0xaf123456, vcc_hi clamp ; encoding: [0xff,0xfc,0x19,0xd7,0xff,0xd6,0x00,0x02,0x56,0x34,0x12,0xaf]

v_trig_preop_f64 v[5:6], v[1:2], v2
// GFX13: v_trig_preop_f64 v[5:6], v[1:2], v2     ; encoding: [0x05,0x00,0x2f,0xd7,0x01,0x05,0x02,0x02]

v_trig_preop_f64 v[5:6], v[1:2], v255
// GFX13: v_trig_preop_f64 v[5:6], v[1:2], v255   ; encoding: [0x05,0x00,0x2f,0xd7,0x01,0xff,0x03,0x02]

v_trig_preop_f64 v[5:6], v[1:2], s2
// GFX13: v_trig_preop_f64 v[5:6], v[1:2], s2     ; encoding: [0x05,0x00,0x2f,0xd7,0x01,0x05,0x00,0x02]

v_trig_preop_f64 v[5:6], v[1:2], s105
// GFX13: v_trig_preop_f64 v[5:6], v[1:2], s105   ; encoding: [0x05,0x00,0x2f,0xd7,0x01,0xd3,0x00,0x02]

v_trig_preop_f64 v[5:6], v[254:255], ttmp15
// GFX13: v_trig_preop_f64 v[5:6], v[254:255], ttmp15 ; encoding: [0x05,0x00,0x2f,0xd7,0xfe,0xf7,0x00,0x02]

v_trig_preop_f64 v[5:6], s[2:3], vcc_hi
// GFX13: v_trig_preop_f64 v[5:6], s[2:3], vcc_hi ; encoding: [0x05,0x00,0x2f,0xd7,0x02,0xd6,0x00,0x02]

v_trig_preop_f64 v[5:6], s[104:105], vcc_lo
// GFX13: v_trig_preop_f64 v[5:6], s[104:105], vcc_lo ; encoding: [0x05,0x00,0x2f,0xd7,0x68,0xd4,0x00,0x02]

v_trig_preop_f64 v[5:6], vcc, m0
// GFX13: v_trig_preop_f64 v[5:6], vcc, m0        ; encoding: [0x05,0x00,0x2f,0xd7,0x6a,0xfa,0x00,0x02]

v_trig_preop_f64 v[5:6], ttmp[14:15], exec_hi
// GFX13: v_trig_preop_f64 v[5:6], ttmp[14:15], exec_hi ; encoding: [0x05,0x00,0x2f,0xd7,0x7a,0xfe,0x00,0x02]

v_trig_preop_f64 v[5:6], exec, exec_lo
// GFX13: v_trig_preop_f64 v[5:6], exec, exec_lo  ; encoding: [0x05,0x00,0x2f,0xd7,0x7e,0xfc,0x00,0x02]

v_trig_preop_f64 v[5:6], null, null
// GFX13: v_trig_preop_f64 v[5:6], null, null     ; encoding: [0x05,0x00,0x2f,0xd7,0x7c,0xf8,0x00,0x02]

v_trig_preop_f64 v[5:6], -1, -1
// GFX13: v_trig_preop_f64 v[5:6], -1, -1         ; encoding: [0x05,0x00,0x2f,0xd7,0xc1,0x82,0x01,0x02]

v_trig_preop_f64 v[5:6], 0.5, 0.5 mul:2
// GFX13: v_trig_preop_f64 v[5:6], 0.5, 0.5 mul:2 ; encoding: [0x05,0x00,0x2f,0xd7,0xf0,0xe0,0x01,0x0a]

v_trig_preop_f64 v[5:6], -|src_scc|, src_scc mul:4
// GFX13: v_trig_preop_f64 v[5:6], -|src_scc|, src_scc mul:4 ; encoding: [0x05,0x01,0x2f,0xd7,0xfd,0xfa,0x01,0x32]

v_trig_preop_f64 v[254:255], 0xaf123456, 0xaf123456 clamp div:2
// GFX13: v_trig_preop_f64 v[254:255], 0xaf123456, 0xaf123456 clamp div:2 ; encoding: [0xfe,0x80,0x2f,0xd7,0xff,0xfe,0x01,0x1a,0x56,0x34,0x12,0xaf]

v_writelane_b32 v5, s1, s2
// GFX13: v_writelane_b32 v5, s1, s2              ; encoding: [0x05,0x00,0x61,0xd7,0x01,0x04,0x00,0x02]

v_writelane_b32 v5, s105, s2
// GFX13: v_writelane_b32 v5, s105, s2            ; encoding: [0x05,0x00,0x61,0xd7,0x69,0x04,0x00,0x02]

v_writelane_b32 v5, vcc_lo, s2
// GFX13: v_writelane_b32 v5, vcc_lo, s2          ; encoding: [0x05,0x00,0x61,0xd7,0x6a,0x04,0x00,0x02]

v_writelane_b32 v5, vcc_hi, s2
// GFX13: v_writelane_b32 v5, vcc_hi, s2          ; encoding: [0x05,0x00,0x61,0xd7,0x6b,0x04,0x00,0x02]

v_writelane_b32 v5, ttmp15, s2
// GFX13: v_writelane_b32 v5, ttmp15, s2          ; encoding: [0x05,0x00,0x61,0xd7,0x7b,0x04,0x00,0x02]

v_writelane_b32 v5, m0, s2
// GFX13: v_writelane_b32 v5, m0, s2              ; encoding: [0x05,0x00,0x61,0xd7,0x7d,0x04,0x00,0x02]

v_writelane_b32 v5, exec_lo, s2
// GFX13: v_writelane_b32 v5, exec_lo, s2         ; encoding: [0x05,0x00,0x61,0xd7,0x7e,0x04,0x00,0x02]

v_writelane_b32 v5, exec_hi, s105
// GFX13: v_writelane_b32 v5, exec_hi, s105       ; encoding: [0x05,0x00,0x61,0xd7,0x7f,0xd2,0x00,0x02]

v_writelane_b32 v5, null, ttmp15
// GFX13: v_writelane_b32 v5, null, ttmp15        ; encoding: [0x05,0x00,0x61,0xd7,0x7c,0xf6,0x00,0x02]

v_writelane_b32 v5, -1, null
// GFX13: v_writelane_b32 v5, -1, null            ; encoding: [0x05,0x00,0x61,0xd7,0xc1,0xf8,0x00,0x02]

v_writelane_b32 v5, 0.5, m0
// GFX13: v_writelane_b32 v5, 0.5, m0             ; encoding: [0x05,0x00,0x61,0xd7,0xf0,0xfa,0x00,0x02]

v_writelane_b32 v5, src_scc, vcc_lo
// GFX13: v_writelane_b32 v5, src_scc, vcc_lo     ; encoding: [0x05,0x00,0x61,0xd7,0xfd,0xd4,0x00,0x02]

v_writelane_b32 v255, 0xaf123456, vcc_hi
// GFX13: v_writelane_b32 v255, 0xaf123456, vcc_hi ; encoding: [0xff,0x00,0x61,0xd7,0xff,0xd6,0x00,0x02,0x56,0x34,0x12,0xaf]

v_xad_u32 v5, v1, v2, s3
// GFX13: v_xad_u32 v5, v1, v2, s3                ; encoding: [0x05,0x00,0x45,0xd7,0x01,0x05,0x0e,0x00]

v_xad_u32 v5, v255, s2, s105
// GFX13: v_xad_u32 v5, v255, s2, s105            ; encoding: [0x05,0x00,0x45,0xd7,0xff,0x05,0xa4,0x01]

v_xad_u32 v5, s1, v255, exec_hi
// GFX13: v_xad_u32 v5, s1, v255, exec_hi         ; encoding: [0x05,0x00,0x45,0xd7,0x01,0xfe,0xff,0x01]

v_xad_u32 v5, s105, s105, exec_lo
// GFX13: v_xad_u32 v5, s105, s105, exec_lo       ; encoding: [0x05,0x00,0x45,0xd7,0x69,0xd2,0xf8,0x01]

v_xad_u32 v5, vcc_lo, ttmp15, v3
// GFX13: v_xad_u32 v5, vcc_lo, ttmp15, v3        ; encoding: [0x05,0x00,0x45,0xd7,0x6a,0xf6,0x0c,0x04]

v_xad_u32 v5, vcc_hi, 0xaf123456, v255
// GFX13: v_xad_u32 v5, vcc_hi, 0xaf123456, v255  ; encoding: [0x05,0x00,0x45,0xd7,0x6b,0xfe,0xfd,0x07,0x56,0x34,0x12,0xaf]

v_xad_u32 v5, ttmp15, src_scc, ttmp15
// GFX13: v_xad_u32 v5, ttmp15, src_scc, ttmp15   ; encoding: [0x05,0x00,0x45,0xd7,0x7b,0xfa,0xed,0x01]

v_xad_u32 v5, m0, 0.5, m0
// GFX13: v_xad_u32 v5, m0, 0.5, m0               ; encoding: [0x05,0x00,0x45,0xd7,0x7d,0xe0,0xf5,0x01]

v_xad_u32 v5, exec_lo, -1, vcc_hi
// GFX13: v_xad_u32 v5, exec_lo, -1, vcc_hi       ; encoding: [0x05,0x00,0x45,0xd7,0x7e,0x82,0xad,0x01]

v_xad_u32 v5, exec_hi, null, vcc_lo
// GFX13: v_xad_u32 v5, exec_hi, null, vcc_lo     ; encoding: [0x05,0x00,0x45,0xd7,0x7f,0xf8,0xa8,0x01]

v_xad_u32 v5, null, exec_lo, 0xaf123456
// GFX13: v_xad_u32 v5, null, exec_lo, 0xaf123456 ; encoding: [0x05,0x00,0x45,0xd7,0x7c,0xfc,0xfc,0x03,0x56,0x34,0x12,0xaf]

v_xad_u32 v5, -1, exec_hi, src_scc
// GFX13: v_xad_u32 v5, -1, exec_hi, src_scc      ; encoding: [0x05,0x00,0x45,0xd7,0xc1,0xfe,0xf4,0x03]

v_xad_u32 v5, 0.5, m0, 0.5
// GFX13: v_xad_u32 v5, 0.5, m0, 0.5              ; encoding: [0x05,0x00,0x45,0xd7,0xf0,0xfa,0xc0,0x03]

v_xad_u32 v5, src_scc, vcc_lo, -1
// GFX13: v_xad_u32 v5, src_scc, vcc_lo, -1       ; encoding: [0x05,0x00,0x45,0xd7,0xfd,0xd4,0x04,0x03]

v_xad_u32 v255, 0xaf123456, vcc_hi, null
// GFX13: v_xad_u32 v255, 0xaf123456, vcc_hi, null ; encoding: [0xff,0x00,0x45,0xd7,0xff,0xd6,0xf0,0x01,0x56,0x34,0x12,0xaf]

v_xor3_b32 v5, v1, v2, s3
// GFX13: v_xor3_b32 v5, v1, v2, s3               ; encoding: [0x05,0x00,0x40,0xd6,0x01,0x05,0x0e,0x00]

v_xor3_b32 v5, v255, s2, s105
// GFX13: v_xor3_b32 v5, v255, s2, s105           ; encoding: [0x05,0x00,0x40,0xd6,0xff,0x05,0xa4,0x01]

v_xor3_b32 v5, s1, v255, exec_hi
// GFX13: v_xor3_b32 v5, s1, v255, exec_hi        ; encoding: [0x05,0x00,0x40,0xd6,0x01,0xfe,0xff,0x01]

v_xor3_b32 v5, s105, s105, exec_lo
// GFX13: v_xor3_b32 v5, s105, s105, exec_lo      ; encoding: [0x05,0x00,0x40,0xd6,0x69,0xd2,0xf8,0x01]

v_xor3_b32 v5, vcc_lo, ttmp15, v3
// GFX13: v_xor3_b32 v5, vcc_lo, ttmp15, v3       ; encoding: [0x05,0x00,0x40,0xd6,0x6a,0xf6,0x0c,0x04]

v_xor3_b32 v5, vcc_hi, 0xaf123456, v255
// GFX13: v_xor3_b32 v5, vcc_hi, 0xaf123456, v255 ; encoding: [0x05,0x00,0x40,0xd6,0x6b,0xfe,0xfd,0x07,0x56,0x34,0x12,0xaf]

v_xor3_b32 v5, ttmp15, src_scc, ttmp15
// GFX13: v_xor3_b32 v5, ttmp15, src_scc, ttmp15  ; encoding: [0x05,0x00,0x40,0xd6,0x7b,0xfa,0xed,0x01]

v_xor3_b32 v5, m0, 0.5, m0
// GFX13: v_xor3_b32 v5, m0, 0.5, m0              ; encoding: [0x05,0x00,0x40,0xd6,0x7d,0xe0,0xf5,0x01]

v_xor3_b32 v5, exec_lo, -1, vcc_hi
// GFX13: v_xor3_b32 v5, exec_lo, -1, vcc_hi      ; encoding: [0x05,0x00,0x40,0xd6,0x7e,0x82,0xad,0x01]

v_xor3_b32 v5, exec_hi, null, vcc_lo
// GFX13: v_xor3_b32 v5, exec_hi, null, vcc_lo    ; encoding: [0x05,0x00,0x40,0xd6,0x7f,0xf8,0xa8,0x01]

v_xor3_b32 v5, null, exec_lo, 0xaf123456
// GFX13: v_xor3_b32 v5, null, exec_lo, 0xaf123456 ; encoding: [0x05,0x00,0x40,0xd6,0x7c,0xfc,0xfc,0x03,0x56,0x34,0x12,0xaf]

v_xor3_b32 v5, -1, exec_hi, src_scc
// GFX13: v_xor3_b32 v5, -1, exec_hi, src_scc     ; encoding: [0x05,0x00,0x40,0xd6,0xc1,0xfe,0xf4,0x03]

v_xor3_b32 v5, 0.5, m0, 0.5
// GFX13: v_xor3_b32 v5, 0.5, m0, 0.5             ; encoding: [0x05,0x00,0x40,0xd6,0xf0,0xfa,0xc0,0x03]

v_xor3_b32 v5, src_scc, vcc_lo, -1
// GFX13: v_xor3_b32 v5, src_scc, vcc_lo, -1      ; encoding: [0x05,0x00,0x40,0xd6,0xfd,0xd4,0x04,0x03]

v_xor3_b32 v255, 0xaf123456, vcc_hi, null
// GFX13: v_xor3_b32 v255, 0xaf123456, vcc_hi, null ; encoding: [0xff,0x00,0x40,0xd6,0xff,0xd6,0xf0,0x01,0x56,0x34,0x12,0xaf]

v_xor_b16 v5, v1, v2
// GFX13: v_xor_b16 v5, v1, v2                    ; encoding: [0x05,0x00,0x70,0xd7,0x01,0x05,0x02,0x02]

v_xor_b16 v5, v255, v255
// GFX13: v_xor_b16 v5, v255, v255                ; encoding: [0x05,0x00,0x70,0xd7,0xff,0xff,0x03,0x02]

v_xor_b16 v5, s1, s2
// GFX13: v_xor_b16 v5, s1, s2                    ; encoding: [0x05,0x00,0x70,0xd7,0x01,0x04,0x00,0x02]

v_xor_b16 v5, s105, s105
// GFX13: v_xor_b16 v5, s105, s105                ; encoding: [0x05,0x00,0x70,0xd7,0x69,0xd2,0x00,0x02]

v_xor_b16 v5, vcc_lo, ttmp15
// GFX13: v_xor_b16 v5, vcc_lo, ttmp15            ; encoding: [0x05,0x00,0x70,0xd7,0x6a,0xf6,0x00,0x02]

v_xor_b16 v5, vcc_hi, 0xfe0b
// GFX13: v_xor_b16 v5, vcc_hi, 0xfe0b            ; encoding: [0x05,0x00,0x70,0xd7,0x6b,0xfe,0x01,0x02,0x0b,0xfe,0x00,0x00]

v_xor_b16 v5, ttmp15, src_scc
// GFX13: v_xor_b16 v5, ttmp15, src_scc           ; encoding: [0x05,0x00,0x70,0xd7,0x7b,0xfa,0x01,0x02]

v_xor_b16 v5, m0, 0.5
// GFX13: v_xor_b16 v5, m0, 0.5                   ; encoding: [0x05,0x00,0x70,0xd7,0x7d,0xe0,0x01,0x02]

v_xor_b16 v5, exec_lo, -1
// GFX13: v_xor_b16 v5, exec_lo, -1               ; encoding: [0x05,0x00,0x70,0xd7,0x7e,0x82,0x01,0x02]

v_xor_b16 v5, exec_hi, null
// GFX13: v_xor_b16 v5, exec_hi, null             ; encoding: [0x05,0x00,0x70,0xd7,0x7f,0xf8,0x00,0x02]

v_xor_b16 v5, null, exec_lo
// GFX13: v_xor_b16 v5, null, exec_lo             ; encoding: [0x05,0x00,0x70,0xd7,0x7c,0xfc,0x00,0x02]

v_xor_b16 v5, -1, exec_hi
// GFX13: v_xor_b16 v5, -1, exec_hi               ; encoding: [0x05,0x00,0x70,0xd7,0xc1,0xfe,0x00,0x02]

v_xor_b16 v5, 0.5, m0
// GFX13: v_xor_b16 v5, 0.5, m0                   ; encoding: [0x05,0x00,0x70,0xd7,0xf0,0xfa,0x00,0x02]

v_xor_b16 v5, src_scc, vcc_lo
// GFX13: v_xor_b16 v5, src_scc, vcc_lo           ; encoding: [0x05,0x00,0x70,0xd7,0xfd,0xd4,0x00,0x02]

v_xor_b16 v255, 0xfe0b, vcc_hi
// GFX13: v_xor_b16 v255, 0xfe0b, vcc_hi          ; encoding: [0xff,0x00,0x70,0xd7,0xff,0xd6,0x00,0x02,0x0b,0xfe,0x00,0x00]

v_minimum_f32 v5, v1, v2
// GFX13: v_minimum_f32 v5, v1, v2                ; encoding: [0x05,0x00,0x3c,0xd7,0x01,0x05,0x02,0x02]

v_minimum_f32 v5, v255, v255
// GFX13: v_minimum_f32 v5, v255, v255            ; encoding: [0x05,0x00,0x3c,0xd7,0xff,0xff,0x03,0x02]

v_minimum_f32 v5, s1, s2
// GFX13: v_minimum_f32 v5, s1, s2                ; encoding: [0x05,0x00,0x3c,0xd7,0x01,0x04,0x00,0x02]

v_minimum_f32 v5, s105, s105
// GFX13: v_minimum_f32 v5, s105, s105            ; encoding: [0x05,0x00,0x3c,0xd7,0x69,0xd2,0x00,0x02]

v_minimum_f32 v5, vcc_lo, ttmp15
// GFX13: v_minimum_f32 v5, vcc_lo, ttmp15        ; encoding: [0x05,0x00,0x3c,0xd7,0x6a,0xf6,0x00,0x02]

v_minimum_f32 v5, vcc_hi, 0xaf123456
// GFX13: v_minimum_f32 v5, vcc_hi, 0xaf123456    ; encoding: [0x05,0x00,0x3c,0xd7,0x6b,0xfe,0x01,0x02,0x56,0x34,0x12,0xaf]

v_minimum_f32 v5, ttmp15, src_scc
// GFX13: v_minimum_f32 v5, ttmp15, src_scc       ; encoding: [0x05,0x00,0x3c,0xd7,0x7b,0xfa,0x01,0x02]

v_minimum_f32 v5, m0, 0.5
// GFX13: v_minimum_f32 v5, m0, 0.5               ; encoding: [0x05,0x00,0x3c,0xd7,0x7d,0xe0,0x01,0x02]

v_minimum_f32 v5, exec_lo, -1
// GFX13: v_minimum_f32 v5, exec_lo, -1           ; encoding: [0x05,0x00,0x3c,0xd7,0x7e,0x82,0x01,0x02]

v_minimum_f32 v5, |exec_hi|, null
// GFX13: v_minimum_f32 v5, |exec_hi|, null       ; encoding: [0x05,0x01,0x3c,0xd7,0x7f,0xf8,0x00,0x02]

v_minimum_f32 v5, null, exec_lo
// GFX13: v_minimum_f32 v5, null, exec_lo         ; encoding: [0x05,0x00,0x3c,0xd7,0x7c,0xfc,0x00,0x02]

v_minimum_f32 v5, -1, exec_hi
// GFX13: v_minimum_f32 v5, -1, exec_hi           ; encoding: [0x05,0x00,0x3c,0xd7,0xc1,0xfe,0x00,0x02]

v_minimum_f32 v5, 0.5, -m0
// GFX13: v_minimum_f32 v5, 0.5, -m0              ; encoding: [0x05,0x00,0x3c,0xd7,0xf0,0xfa,0x00,0x42]

v_minimum_f32 v5, -src_scc, |vcc_lo|
// GFX13: v_minimum_f32 v5, -src_scc, |vcc_lo|    ; encoding: [0x05,0x02,0x3c,0xd7,0xfd,0xd4,0x00,0x22]

v_minimum_f32 v255, -|0xaf123456|, -|vcc_hi|
// GFX13: v_minimum_f32 v255, -|0xaf123456|, -|vcc_hi| ; encoding: [0xff,0x03,0x3c,0xd7,0xff,0xd6,0x00,0x62,0x56,0x34,0x12,0xaf]

v_maximum_f32 v5, v1, v2
// GFX13: v_maximum_f32 v5, v1, v2                ; encoding: [0x05,0x00,0x3d,0xd7,0x01,0x05,0x02,0x02]

v_maximum_f32 v5, v255, v255
// GFX13: v_maximum_f32 v5, v255, v255            ; encoding: [0x05,0x00,0x3d,0xd7,0xff,0xff,0x03,0x02]

v_maximum_f32 v5, s1, s2
// GFX13: v_maximum_f32 v5, s1, s2                ; encoding: [0x05,0x00,0x3d,0xd7,0x01,0x04,0x00,0x02]

v_maximum_f32 v5, s105, s105
// GFX13: v_maximum_f32 v5, s105, s105            ; encoding: [0x05,0x00,0x3d,0xd7,0x69,0xd2,0x00,0x02]

v_maximum_f32 v5, vcc_lo, ttmp15
// GFX13: v_maximum_f32 v5, vcc_lo, ttmp15        ; encoding: [0x05,0x00,0x3d,0xd7,0x6a,0xf6,0x00,0x02]

v_maximum_f32 v5, vcc_hi, 0xaf123456
// GFX13: v_maximum_f32 v5, vcc_hi, 0xaf123456    ; encoding: [0x05,0x00,0x3d,0xd7,0x6b,0xfe,0x01,0x02,0x56,0x34,0x12,0xaf]

v_maximum_f32 v5, ttmp15, src_scc
// GFX13: v_maximum_f32 v5, ttmp15, src_scc       ; encoding: [0x05,0x00,0x3d,0xd7,0x7b,0xfa,0x01,0x02]

v_maximum_f32 v5, m0, 0.5
// GFX13: v_maximum_f32 v5, m0, 0.5               ; encoding: [0x05,0x00,0x3d,0xd7,0x7d,0xe0,0x01,0x02]

v_maximum_f32 v5, exec_lo, -1
// GFX13: v_maximum_f32 v5, exec_lo, -1           ; encoding: [0x05,0x00,0x3d,0xd7,0x7e,0x82,0x01,0x02]

v_maximum_f32 v5, |exec_hi|, null
// GFX13: v_maximum_f32 v5, |exec_hi|, null       ; encoding: [0x05,0x01,0x3d,0xd7,0x7f,0xf8,0x00,0x02]

v_maximum_f32 v5, null, exec_lo
// GFX13: v_maximum_f32 v5, null, exec_lo         ; encoding: [0x05,0x00,0x3d,0xd7,0x7c,0xfc,0x00,0x02]

v_maximum_f32 v5, -1, exec_hi
// GFX13: v_maximum_f32 v5, -1, exec_hi           ; encoding: [0x05,0x00,0x3d,0xd7,0xc1,0xfe,0x00,0x02]

v_maximum_f32 v5, 0.5, -m0
// GFX13: v_maximum_f32 v5, 0.5, -m0              ; encoding: [0x05,0x00,0x3d,0xd7,0xf0,0xfa,0x00,0x42]

v_maximum_f32 v5, -src_scc, |vcc_lo|
// GFX13: v_maximum_f32 v5, -src_scc, |vcc_lo|    ; encoding: [0x05,0x02,0x3d,0xd7,0xfd,0xd4,0x00,0x22]

v_maximum_f32 v255, -|0xaf123456|, -|vcc_hi|
// GFX13: v_maximum_f32 v255, -|0xaf123456|, -|vcc_hi| ; encoding: [0xff,0x03,0x3d,0xd7,0xff,0xd6,0x00,0x62,0x56,0x34,0x12,0xaf]

v_minimum_f16 v5, v1, v2
// GFX13: v_minimum_f16 v5, v1, v2                ; encoding: [0x05,0x00,0x3a,0xd7,0x01,0x05,0x02,0x02]

v_minimum_f16 v5, v255, v255
// GFX13: v_minimum_f16 v5, v255, v255            ; encoding: [0x05,0x00,0x3a,0xd7,0xff,0xff,0x03,0x02]

v_minimum_f16 v5, s1, s2
// GFX13: v_minimum_f16 v5, s1, s2                ; encoding: [0x05,0x00,0x3a,0xd7,0x01,0x04,0x00,0x02]

v_minimum_f16 v5, s105, s105
// GFX13: v_minimum_f16 v5, s105, s105            ; encoding: [0x05,0x00,0x3a,0xd7,0x69,0xd2,0x00,0x02]

v_minimum_f16 v5, vcc_lo, ttmp15
// GFX13: v_minimum_f16 v5, vcc_lo, ttmp15        ; encoding: [0x05,0x00,0x3a,0xd7,0x6a,0xf6,0x00,0x02]

v_minimum_f16 v5, vcc_hi, 0xaf12
// GFX13: v_minimum_f16 v5, vcc_hi, 0xaf12        ; encoding: [0x05,0x00,0x3a,0xd7,0x6b,0xfe,0x01,0x02,0x12,0xaf,0x00,0x00]

v_minimum_f16 v5, ttmp15, src_scc
// GFX13: v_minimum_f16 v5, ttmp15, src_scc       ; encoding: [0x05,0x00,0x3a,0xd7,0x7b,0xfa,0x01,0x02]

v_minimum_f16 v5, m0, 0.5
// GFX13: v_minimum_f16 v5, m0, 0.5               ; encoding: [0x05,0x00,0x3a,0xd7,0x7d,0xe0,0x01,0x02]

v_minimum_f16 v5, exec_lo, -1
// GFX13: v_minimum_f16 v5, exec_lo, -1           ; encoding: [0x05,0x00,0x3a,0xd7,0x7e,0x82,0x01,0x02]

v_minimum_f16 v5, |exec_hi|, null
// GFX13: v_minimum_f16 v5, |exec_hi|, null       ; encoding: [0x05,0x01,0x3a,0xd7,0x7f,0xf8,0x00,0x02]

v_minimum_f16 v5, null, exec_lo
// GFX13: v_minimum_f16 v5, null, exec_lo         ; encoding: [0x05,0x00,0x3a,0xd7,0x7c,0xfc,0x00,0x02]

v_minimum_f16 v5, -1, exec_hi
// GFX13: v_minimum_f16 v5, -1, exec_hi           ; encoding: [0x05,0x00,0x3a,0xd7,0xc1,0xfe,0x00,0x02]

v_minimum_f16 v5, 0.5, -m0
// GFX13: v_minimum_f16 v5, 0.5, -m0              ; encoding: [0x05,0x00,0x3a,0xd7,0xf0,0xfa,0x00,0x42]

v_minimum_f16 v5, -src_scc, |vcc_lo|
// GFX13: v_minimum_f16 v5, -src_scc, |vcc_lo|    ; encoding: [0x05,0x02,0x3a,0xd7,0xfd,0xd4,0x00,0x22]

v_minimum_f16 v255, -|0xaf12|, -|vcc_hi|
// GFX13: v_minimum_f16 v255, -|0xaf12|, -|vcc_hi| ; encoding: [0xff,0x03,0x3a,0xd7,0xff,0xd6,0x00,0x62,0x12,0xaf,0x00,0x00]

v_minimum_f16 v205, v201, v200
// GFX13: v_minimum_f16 v205, v201, v200          ; encoding: [0xcd,0x00,0x3a,0xd7,0xc9,0x91,0x03,0x02]

v_maximum_f16 v5, v1, v2
// GFX13: v_maximum_f16 v5, v1, v2                ; encoding: [0x05,0x00,0x3b,0xd7,0x01,0x05,0x02,0x02]

v_maximum_f16 v5, v255, v255
// GFX13: v_maximum_f16 v5, v255, v255            ; encoding: [0x05,0x00,0x3b,0xd7,0xff,0xff,0x03,0x02]

v_maximum_f16 v5, s1, s2
// GFX13: v_maximum_f16 v5, s1, s2                ; encoding: [0x05,0x00,0x3b,0xd7,0x01,0x04,0x00,0x02]

v_maximum_f16 v5, s105, s105
// GFX13: v_maximum_f16 v5, s105, s105            ; encoding: [0x05,0x00,0x3b,0xd7,0x69,0xd2,0x00,0x02]

v_maximum_f16 v5, vcc_lo, ttmp15
// GFX13: v_maximum_f16 v5, vcc_lo, ttmp15        ; encoding: [0x05,0x00,0x3b,0xd7,0x6a,0xf6,0x00,0x02]

v_maximum_f16 v5, vcc_hi, 0xaf12
// GFX13: v_maximum_f16 v5, vcc_hi, 0xaf12        ; encoding: [0x05,0x00,0x3b,0xd7,0x6b,0xfe,0x01,0x02,0x12,0xaf,0x00,0x00]

v_maximum_f16 v5, ttmp15, src_scc
// GFX13: v_maximum_f16 v5, ttmp15, src_scc       ; encoding: [0x05,0x00,0x3b,0xd7,0x7b,0xfa,0x01,0x02]

v_maximum_f16 v5, m0, 0.5
// GFX13: v_maximum_f16 v5, m0, 0.5               ; encoding: [0x05,0x00,0x3b,0xd7,0x7d,0xe0,0x01,0x02]

v_maximum_f16 v5, exec_lo, -1
// GFX13: v_maximum_f16 v5, exec_lo, -1           ; encoding: [0x05,0x00,0x3b,0xd7,0x7e,0x82,0x01,0x02]

v_maximum_f16 v5, |exec_hi|, null
// GFX13: v_maximum_f16 v5, |exec_hi|, null       ; encoding: [0x05,0x01,0x3b,0xd7,0x7f,0xf8,0x00,0x02]

v_maximum_f16 v5, null, exec_lo
// GFX13: v_maximum_f16 v5, null, exec_lo         ; encoding: [0x05,0x00,0x3b,0xd7,0x7c,0xfc,0x00,0x02]

v_maximum_f16 v5, -1, exec_hi
// GFX13: v_maximum_f16 v5, -1, exec_hi           ; encoding: [0x05,0x00,0x3b,0xd7,0xc1,0xfe,0x00,0x02]

v_maximum_f16 v5, 0.5, -m0
// GFX13: v_maximum_f16 v5, 0.5, -m0              ; encoding: [0x05,0x00,0x3b,0xd7,0xf0,0xfa,0x00,0x42]

v_maximum_f16 v5, -src_scc, |vcc_lo|
// GFX13: v_maximum_f16 v5, -src_scc, |vcc_lo|    ; encoding: [0x05,0x02,0x3b,0xd7,0xfd,0xd4,0x00,0x22]

v_maximum_f16 v255, -|0xaf12|, -|vcc_hi|
// GFX13: v_maximum_f16 v255, -|0xaf12|, -|vcc_hi| ; encoding: [0xff,0x03,0x3b,0xd7,0xff,0xd6,0x00,0x62,0x12,0xaf,0x00,0x00]

v_maximum_f16 v205, v201, v200
// GFX13: v_maximum_f16 v205, v201, v200          ; encoding: [0xcd,0x00,0x3b,0xd7,0xc9,0x91,0x03,0x02]

v_minimum_f64 v[5:6], v[1:2], v[3:4]
// GFX13: v_minimum_f64 v[5:6], v[1:2], v[3:4]    ; encoding: [0x05,0x00,0x3e,0xd7,0x01,0x07,0x02,0x02]

v_minimum_f64 v[5:6], v[254:255], v[254:255]
// GFX13: v_minimum_f64 v[5:6], v[254:255], v[254:255] ; encoding: [0x05,0x00,0x3e,0xd7,0xfe,0xfd,0x03,0x02]

v_minimum_f64 v[5:6], s[6:7], s[4:5]
// GFX13: v_minimum_f64 v[5:6], s[6:7], s[4:5]    ; encoding: [0x05,0x00,0x3e,0xd7,0x06,0x08,0x00,0x02]

v_minimum_f64 v[5:6], s[104:105], s[104:105]
// GFX13: v_minimum_f64 v[5:6], s[104:105], s[104:105] ; encoding: [0x05,0x00,0x3e,0xd7,0x68,0xd0,0x00,0x02]

v_minimum_f64 v[5:6], vcc, ttmp[14:15]
// GFX13: v_minimum_f64 v[5:6], vcc, ttmp[14:15]  ; encoding: [0x05,0x00,0x3e,0xd7,0x6a,0xf4,0x00,0x02]

v_minimum_f64 v[5:6], vcc, 0xaf121234
// GFX13: v_minimum_f64 v[5:6], vcc, 0xaf121234   ; encoding: [0x05,0x00,0x3e,0xd7,0x6a,0xfe,0x01,0x02,0x34,0x12,0x12,0xaf]

v_minimum_f64 v[5:6], ttmp[14:15], src_scc
// GFX13: v_minimum_f64 v[5:6], ttmp[14:15], src_scc ; encoding: [0x05,0x00,0x3e,0xd7,0x7a,0xfa,0x01,0x02]

v_minimum_f64 v[5:6], vcc, 0.5
// GFX13: v_minimum_f64 v[5:6], vcc, 0.5          ; encoding: [0x05,0x00,0x3e,0xd7,0x6a,0xe0,0x01,0x02]

v_minimum_f64 v[5:6], exec, -1
// GFX13: v_minimum_f64 v[5:6], exec, -1          ; encoding: [0x05,0x00,0x3e,0xd7,0x7e,0x82,0x01,0x02]

v_minimum_f64 v[5:6], |exec|, null
// GFX13: v_minimum_f64 v[5:6], |exec|, null      ; encoding: [0x05,0x01,0x3e,0xd7,0x7e,0xf8,0x00,0x02]

v_minimum_f64 v[5:6], null, exec
// GFX13: v_minimum_f64 v[5:6], null, exec        ; encoding: [0x05,0x00,0x3e,0xd7,0x7c,0xfc,0x00,0x02]

v_minimum_f64 v[5:6], -1, exec
// GFX13: v_minimum_f64 v[5:6], -1, exec          ; encoding: [0x05,0x00,0x3e,0xd7,0xc1,0xfc,0x00,0x02]

v_minimum_f64 v[5:6], 0.5, -vcc
// GFX13: v_minimum_f64 v[5:6], 0.5, -vcc         ; encoding: [0x05,0x00,0x3e,0xd7,0xf0,0xd4,0x00,0x42]

v_minimum_f64 v[5:6], -src_scc, |vcc|
// GFX13: v_minimum_f64 v[5:6], -src_scc, |vcc|   ; encoding: [0x05,0x02,0x3e,0xd7,0xfd,0xd4,0x00,0x22]

v_minimum_f64 v[254:255], -|2|, -|vcc|
// GFX13: v_minimum_f64 v[254:255], -|2|, -|vcc|  ; encoding: [0xfe,0x03,0x3e,0xd7,0x82,0xd4,0x00,0x62]

v_maximum_f64 v[5:6], v[1:2], v[3:4]
// GFX13: v_maximum_f64 v[5:6], v[1:2], v[3:4]    ; encoding: [0x05,0x00,0x3f,0xd7,0x01,0x07,0x02,0x02]

v_maximum_f64 v[5:6], v[254:255], v[254:255]
// GFX13: v_maximum_f64 v[5:6], v[254:255], v[254:255] ; encoding: [0x05,0x00,0x3f,0xd7,0xfe,0xfd,0x03,0x02]

v_maximum_f64 v[5:6], s[6:7], s[4:5]
// GFX13: v_maximum_f64 v[5:6], s[6:7], s[4:5]    ; encoding: [0x05,0x00,0x3f,0xd7,0x06,0x08,0x00,0x02]

v_maximum_f64 v[5:6], s[104:105], s[104:105]
// GFX13: v_maximum_f64 v[5:6], s[104:105], s[104:105] ; encoding: [0x05,0x00,0x3f,0xd7,0x68,0xd0,0x00,0x02]

v_maximum_f64 v[5:6], vcc, ttmp[14:15]
// GFX13: v_maximum_f64 v[5:6], vcc, ttmp[14:15]  ; encoding: [0x05,0x00,0x3f,0xd7,0x6a,0xf4,0x00,0x02]

v_maximum_f64 v[5:6], vcc, 0xaf121234
// GFX13: v_maximum_f64 v[5:6], vcc, 0xaf121234   ; encoding: [0x05,0x00,0x3f,0xd7,0x6a,0xfe,0x01,0x02,0x34,0x12,0x12,0xaf]

v_maximum_f64 v[5:6], ttmp[14:15], src_scc
// GFX13: v_maximum_f64 v[5:6], ttmp[14:15], src_scc ; encoding: [0x05,0x00,0x3f,0xd7,0x7a,0xfa,0x01,0x02]

v_maximum_f64 v[5:6], vcc, 0.5
// GFX13: v_maximum_f64 v[5:6], vcc, 0.5          ; encoding: [0x05,0x00,0x3f,0xd7,0x6a,0xe0,0x01,0x02]

v_maximum_f64 v[5:6], exec, -1
// GFX13: v_maximum_f64 v[5:6], exec, -1          ; encoding: [0x05,0x00,0x3f,0xd7,0x7e,0x82,0x01,0x02]

v_maximum_f64 v[5:6], |exec|, null
// GFX13: v_maximum_f64 v[5:6], |exec|, null      ; encoding: [0x05,0x01,0x3f,0xd7,0x7e,0xf8,0x00,0x02]

v_maximum_f64 v[5:6], null, exec
// GFX13: v_maximum_f64 v[5:6], null, exec        ; encoding: [0x05,0x00,0x3f,0xd7,0x7c,0xfc,0x00,0x02]

v_maximum_f64 v[5:6], -1, exec
// GFX13: v_maximum_f64 v[5:6], -1, exec          ; encoding: [0x05,0x00,0x3f,0xd7,0xc1,0xfc,0x00,0x02]

v_maximum_f64 v[5:6], 0.5, -vcc
// GFX13: v_maximum_f64 v[5:6], 0.5, -vcc         ; encoding: [0x05,0x00,0x3f,0xd7,0xf0,0xd4,0x00,0x42]

v_maximum_f64 v[5:6], -src_scc, |vcc|
// GFX13: v_maximum_f64 v[5:6], -src_scc, |vcc|   ; encoding: [0x05,0x02,0x3f,0xd7,0xfd,0xd4,0x00,0x22]

v_maximum_f64 v[254:255], -|2|, -|vcc|
// GFX13: v_maximum_f64 v[254:255], -|2|, -|vcc|  ; encoding: [0xfe,0x03,0x3f,0xd7,0x82,0xd4,0x00,0x62]

v_minimum3_f32 v5, v1, v2, s3
// GFX13: v_minimum3_f32 v5, v1, v2, s3           ; encoding: [0x05,0x00,0x2d,0xd6,0x01,0x05,0x0e,0x00]

v_minimum3_f32 v5, v255, s2, s105
// GFX13: v_minimum3_f32 v5, v255, s2, s105       ; encoding: [0x05,0x00,0x2d,0xd6,0xff,0x05,0xa4,0x01]

v_minimum3_f32 v5, s1, v255, exec_hi
// GFX13: v_minimum3_f32 v5, s1, v255, exec_hi    ; encoding: [0x05,0x00,0x2d,0xd6,0x01,0xfe,0xff,0x01]

v_minimum3_f32 v5, s105, s105, exec_lo
// GFX13: v_minimum3_f32 v5, s105, s105, exec_lo  ; encoding: [0x05,0x00,0x2d,0xd6,0x69,0xd2,0xf8,0x01]

v_minimum3_f32 v5, vcc_lo, ttmp15, v3
// GFX13: v_minimum3_f32 v5, vcc_lo, ttmp15, v3   ; encoding: [0x05,0x00,0x2d,0xd6,0x6a,0xf6,0x0c,0x04]

v_minimum3_f32 v5, vcc_hi, 0xaf123456, v255
// GFX13: v_minimum3_f32 v5, vcc_hi, 0xaf123456, v255 ; encoding: [0x05,0x00,0x2d,0xd6,0x6b,0xfe,0xfd,0x07,0x56,0x34,0x12,0xaf]

v_minimum3_f32 v5, -|ttmp15|, -|src_scc|, -|ttmp15|
// GFX13: v_minimum3_f32 v5, -|ttmp15|, -|src_scc|, -|ttmp15| ; encoding: [0x05,0x07,0x2d,0xd6,0x7b,0xfa,0xed,0xe1]

v_minimum3_f32 v5, m0, 0.5, m0
// GFX13: v_minimum3_f32 v5, m0, 0.5, m0          ; encoding: [0x05,0x00,0x2d,0xd6,0x7d,0xe0,0xf5,0x01]

v_minimum3_f32 v5, |exec_lo|, -1, vcc_hi
// GFX13: v_minimum3_f32 v5, |exec_lo|, -1, vcc_hi ; encoding: [0x05,0x01,0x2d,0xd6,0x7e,0x82,0xad,0x01]

v_minimum3_f32 v5, -|exec_hi|, null, -|vcc_lo|
// GFX13: v_minimum3_f32 v5, -|exec_hi|, null, -|vcc_lo| ; encoding: [0x05,0x05,0x2d,0xd6,0x7f,0xf8,0xa8,0xa1]

v_minimum3_f32 v5, null, exec_lo, -|0xaf123456|
// GFX13: v_minimum3_f32 v5, null, exec_lo, -|0xaf123456| ; encoding: [0x05,0x04,0x2d,0xd6,0x7c,0xfc,0xfc,0x83,0x56,0x34,0x12,0xaf]

v_minimum3_f32 v5, -1, -|exec_hi|, -|src_scc|
// GFX13: v_minimum3_f32 v5, -1, -|exec_hi|, -|src_scc| ; encoding: [0x05,0x06,0x2d,0xd6,0xc1,0xfe,0xf4,0xc3]

v_minimum3_f32 v5, 0.5, -m0, 0.5 mul:2
// GFX13: v_minimum3_f32 v5, 0.5, -m0, 0.5 mul:2  ; encoding: [0x05,0x00,0x2d,0xd6,0xf0,0xfa,0xc0,0x4b]

v_minimum3_f32 v5, -src_scc, |vcc_lo|, -1 mul:4
// GFX13: v_minimum3_f32 v5, -src_scc, |vcc_lo|, -1 mul:4 ; encoding: [0x05,0x02,0x2d,0xd6,0xfd,0xd4,0x04,0x33]

v_minimum3_f32 v255, -|0xaf123456|, -|vcc_hi|, null clamp div:2
// GFX13: v_minimum3_f32 v255, -|0xaf123456|, -|vcc_hi|, null clamp div:2 ; encoding: [0xff,0x83,0x2d,0xd6,0xff,0xd6,0xf0,0x79,0x56,0x34,0x12,0xaf]

v_maximum3_f32 v5, v1, v2, s3
// GFX13: v_maximum3_f32 v5, v1, v2, s3           ; encoding: [0x05,0x00,0x2e,0xd6,0x01,0x05,0x0e,0x00]

v_maximum3_f32 v5, v255, s2, s105
// GFX13: v_maximum3_f32 v5, v255, s2, s105       ; encoding: [0x05,0x00,0x2e,0xd6,0xff,0x05,0xa4,0x01]

v_maximum3_f32 v5, s1, v255, exec_hi
// GFX13: v_maximum3_f32 v5, s1, v255, exec_hi    ; encoding: [0x05,0x00,0x2e,0xd6,0x01,0xfe,0xff,0x01]

v_maximum3_f32 v5, s105, s105, exec_lo
// GFX13: v_maximum3_f32 v5, s105, s105, exec_lo  ; encoding: [0x05,0x00,0x2e,0xd6,0x69,0xd2,0xf8,0x01]

v_maximum3_f32 v5, vcc_lo, ttmp15, v3
// GFX13: v_maximum3_f32 v5, vcc_lo, ttmp15, v3   ; encoding: [0x05,0x00,0x2e,0xd6,0x6a,0xf6,0x0c,0x04]

v_maximum3_f32 v5, vcc_hi, 0xaf123456, v255
// GFX13: v_maximum3_f32 v5, vcc_hi, 0xaf123456, v255 ; encoding: [0x05,0x00,0x2e,0xd6,0x6b,0xfe,0xfd,0x07,0x56,0x34,0x12,0xaf]

v_maximum3_f32 v5, -|ttmp15|, -|src_scc|, -|ttmp15|
// GFX13: v_maximum3_f32 v5, -|ttmp15|, -|src_scc|, -|ttmp15| ; encoding: [0x05,0x07,0x2e,0xd6,0x7b,0xfa,0xed,0xe1]

v_maximum3_f32 v5, m0, 0.5, m0
// GFX13: v_maximum3_f32 v5, m0, 0.5, m0          ; encoding: [0x05,0x00,0x2e,0xd6,0x7d,0xe0,0xf5,0x01]

v_maximum3_f32 v5, |exec_lo|, -1, vcc_hi
// GFX13: v_maximum3_f32 v5, |exec_lo|, -1, vcc_hi ; encoding: [0x05,0x01,0x2e,0xd6,0x7e,0x82,0xad,0x01]

v_maximum3_f32 v5, -|exec_hi|, null, -|vcc_lo|
// GFX13: v_maximum3_f32 v5, -|exec_hi|, null, -|vcc_lo| ; encoding: [0x05,0x05,0x2e,0xd6,0x7f,0xf8,0xa8,0xa1]

v_maximum3_f32 v5, null, exec_lo, -|0xaf123456|
// GFX13: v_maximum3_f32 v5, null, exec_lo, -|0xaf123456| ; encoding: [0x05,0x04,0x2e,0xd6,0x7c,0xfc,0xfc,0x83,0x56,0x34,0x12,0xaf]

v_maximum3_f32 v5, -1, -|exec_hi|, -|src_scc|
// GFX13: v_maximum3_f32 v5, -1, -|exec_hi|, -|src_scc| ; encoding: [0x05,0x06,0x2e,0xd6,0xc1,0xfe,0xf4,0xc3]

v_maximum3_f32 v5, 0.5, -m0, 0.5 mul:2
// GFX13: v_maximum3_f32 v5, 0.5, -m0, 0.5 mul:2  ; encoding: [0x05,0x00,0x2e,0xd6,0xf0,0xfa,0xc0,0x4b]

v_maximum3_f32 v5, -src_scc, |vcc_lo|, -1 mul:4
// GFX13: v_maximum3_f32 v5, -src_scc, |vcc_lo|, -1 mul:4 ; encoding: [0x05,0x02,0x2e,0xd6,0xfd,0xd4,0x04,0x33]

v_maximum3_f32 v255, -|0xaf123456|, -|vcc_hi|, null clamp div:2
// GFX13: v_maximum3_f32 v255, -|0xaf123456|, -|vcc_hi|, null clamp div:2 ; encoding: [0xff,0x83,0x2e,0xd6,0xff,0xd6,0xf0,0x79,0x56,0x34,0x12,0xaf]

v_minimum3_f16 v5, v1, v2, s3
// GFX13: v_minimum3_f16 v5, v1, v2, s3           ; encoding: [0x05,0x00,0x2f,0xd6,0x01,0x05,0x0e,0x00]

v_minimum3_f16 v5, v255, s2, s105
// GFX13: v_minimum3_f16 v5, v255, s2, s105       ; encoding: [0x05,0x00,0x2f,0xd6,0xff,0x05,0xa4,0x01]

v_minimum3_f16 v5, s1, v255, exec_hi
// GFX13: v_minimum3_f16 v5, s1, v255, exec_hi    ; encoding: [0x05,0x00,0x2f,0xd6,0x01,0xfe,0xff,0x01]

v_minimum3_f16 v5, s105, s105, exec_lo
// GFX13: v_minimum3_f16 v5, s105, s105, exec_lo  ; encoding: [0x05,0x00,0x2f,0xd6,0x69,0xd2,0xf8,0x01]

v_minimum3_f16 v5, vcc_lo, ttmp15, v3
// GFX13: v_minimum3_f16 v5, vcc_lo, ttmp15, v3   ; encoding: [0x05,0x00,0x2f,0xd6,0x6a,0xf6,0x0c,0x04]

v_minimum3_f16 v5, vcc_hi, 0xaf12, v255
// GFX13: v_minimum3_f16 v5, vcc_hi, 0xaf12, v255 ; encoding: [0x05,0x00,0x2f,0xd6,0x6b,0xfe,0xfd,0x07,0x12,0xaf,0x00,0x00]

v_minimum3_f16 v5, -|ttmp15|, -|src_scc|, -|ttmp15|
// GFX13: v_minimum3_f16 v5, -|ttmp15|, -|src_scc|, -|ttmp15| ; encoding: [0x05,0x07,0x2f,0xd6,0x7b,0xfa,0xed,0xe1]

v_minimum3_f16 v5, m0, 0.5, m0
// GFX13: v_minimum3_f16 v5, m0, 0.5, m0          ; encoding: [0x05,0x00,0x2f,0xd6,0x7d,0xe0,0xf5,0x01]

v_minimum3_f16 v5, |exec_lo|, -1, vcc_hi
// GFX13: v_minimum3_f16 v5, |exec_lo|, -1, vcc_hi ; encoding: [0x05,0x01,0x2f,0xd6,0x7e,0x82,0xad,0x01]

v_minimum3_f16 v5, -|exec_hi|, null, -|vcc_lo|
// GFX13: v_minimum3_f16 v5, -|exec_hi|, null, -|vcc_lo| ; encoding: [0x05,0x05,0x2f,0xd6,0x7f,0xf8,0xa8,0xa1]

v_minimum3_f16 v5, null, exec_lo, -|0xaf12|
// GFX13: v_minimum3_f16 v5, null, exec_lo, -|0xaf12| ; encoding: [0x05,0x04,0x2f,0xd6,0x7c,0xfc,0xfc,0x83,0x12,0xaf,0x00,0x00]

v_minimum3_f16 v5, -1, -|exec_hi|, -|src_scc|
// GFX13: v_minimum3_f16 v5, -1, -|exec_hi|, -|src_scc| ; encoding: [0x05,0x06,0x2f,0xd6,0xc1,0xfe,0xf4,0xc3]

v_minimum3_f16 v5, 0.5, -m0, 0.5
// GFX13: v_minimum3_f16 v5, 0.5, -m0, 0.5        ; encoding: [0x05,0x00,0x2f,0xd6,0xf0,0xfa,0xc0,0x43]

v_minimum3_f16 v5, -src_scc, |vcc_lo|, -1
// GFX13: v_minimum3_f16 v5, -src_scc, |vcc_lo|, -1 ; encoding: [0x05,0x02,0x2f,0xd6,0xfd,0xd4,0x04,0x23]

v_minimum3_f16 v255, -|0xaf12|, -|vcc_hi|, null clamp
// GFX13: v_minimum3_f16 v255, -|0xaf12|, -|vcc_hi|, null clamp ; encoding: [0xff,0x83,0x2f,0xd6,0xff,0xd6,0xf0,0x61,0x12,0xaf,0x00,0x00]

v_maximum3_f16 v5, v1, v2, s3
// GFX13: v_maximum3_f16 v5, v1, v2, s3           ; encoding: [0x05,0x00,0x30,0xd6,0x01,0x05,0x0e,0x00]

v_maximum3_f16 v5, v255, s2, s105
// GFX13: v_maximum3_f16 v5, v255, s2, s105       ; encoding: [0x05,0x00,0x30,0xd6,0xff,0x05,0xa4,0x01]

v_maximum3_f16 v5, s1, v255, exec_hi
// GFX13: v_maximum3_f16 v5, s1, v255, exec_hi    ; encoding: [0x05,0x00,0x30,0xd6,0x01,0xfe,0xff,0x01]

v_maximum3_f16 v5, s105, s105, exec_lo
// GFX13: v_maximum3_f16 v5, s105, s105, exec_lo  ; encoding: [0x05,0x00,0x30,0xd6,0x69,0xd2,0xf8,0x01]

v_maximum3_f16 v5, vcc_lo, ttmp15, v3
// GFX13: v_maximum3_f16 v5, vcc_lo, ttmp15, v3   ; encoding: [0x05,0x00,0x30,0xd6,0x6a,0xf6,0x0c,0x04]

v_maximum3_f16 v5, vcc_hi, 0xaf12, v255
// GFX13: v_maximum3_f16 v5, vcc_hi, 0xaf12, v255 ; encoding: [0x05,0x00,0x30,0xd6,0x6b,0xfe,0xfd,0x07,0x12,0xaf,0x00,0x00]

v_maximum3_f16 v5, -|ttmp15|, -|src_scc|, -|ttmp15|
// GFX13: v_maximum3_f16 v5, -|ttmp15|, -|src_scc|, -|ttmp15| ; encoding: [0x05,0x07,0x30,0xd6,0x7b,0xfa,0xed,0xe1]

v_maximum3_f16 v5, m0, 0.5, m0
// GFX13: v_maximum3_f16 v5, m0, 0.5, m0          ; encoding: [0x05,0x00,0x30,0xd6,0x7d,0xe0,0xf5,0x01]

v_maximum3_f16 v5, |exec_lo|, -1, vcc_hi
// GFX13: v_maximum3_f16 v5, |exec_lo|, -1, vcc_hi ; encoding: [0x05,0x01,0x30,0xd6,0x7e,0x82,0xad,0x01]

v_maximum3_f16 v5, -|exec_hi|, null, -|vcc_lo|
// GFX13: v_maximum3_f16 v5, -|exec_hi|, null, -|vcc_lo| ; encoding: [0x05,0x05,0x30,0xd6,0x7f,0xf8,0xa8,0xa1]

v_maximum3_f16 v5, null, exec_lo, -|0xaf12|
// GFX13: v_maximum3_f16 v5, null, exec_lo, -|0xaf12| ; encoding: [0x05,0x04,0x30,0xd6,0x7c,0xfc,0xfc,0x83,0x12,0xaf,0x00,0x00]

v_maximum3_f16 v5, -1, -|exec_hi|, -|src_scc|
// GFX13: v_maximum3_f16 v5, -1, -|exec_hi|, -|src_scc| ; encoding: [0x05,0x06,0x30,0xd6,0xc1,0xfe,0xf4,0xc3]

v_maximum3_f16 v5, 0.5, -m0, 0.5
// GFX13: v_maximum3_f16 v5, 0.5, -m0, 0.5        ; encoding: [0x05,0x00,0x30,0xd6,0xf0,0xfa,0xc0,0x43]

v_maximum3_f16 v5, -src_scc, |vcc_lo|, -1
// GFX13: v_maximum3_f16 v5, -src_scc, |vcc_lo|, -1 ; encoding: [0x05,0x02,0x30,0xd6,0xfd,0xd4,0x04,0x23]

v_maximumminimum_f32 v5, v1, v2, s3
// GFX13: v_maximumminimum_f32 v5, v1, v2, s3     ; encoding: [0x05,0x00,0x6d,0xd6,0x01,0x05,0x0e,0x00]

v_maximumminimum_f32 v5, v255, s2, s105
// GFX13: v_maximumminimum_f32 v5, v255, s2, s105 ; encoding: [0x05,0x00,0x6d,0xd6,0xff,0x05,0xa4,0x01]

v_maximumminimum_f32 v5, s1, v255, exec_hi
// GFX13: v_maximumminimum_f32 v5, s1, v255, exec_hi ; encoding: [0x05,0x00,0x6d,0xd6,0x01,0xfe,0xff,0x01]

v_maximumminimum_f32 v5, s105, s105, exec_lo
// GFX13: v_maximumminimum_f32 v5, s105, s105, exec_lo ; encoding: [0x05,0x00,0x6d,0xd6,0x69,0xd2,0xf8,0x01]

v_maximumminimum_f32 v5, vcc_lo, ttmp15, v3
// GFX13: v_maximumminimum_f32 v5, vcc_lo, ttmp15, v3 ; encoding: [0x05,0x00,0x6d,0xd6,0x6a,0xf6,0x0c,0x04]

v_maximumminimum_f32 v5, vcc_hi, 0xaf123456, v255
// GFX13: v_maximumminimum_f32 v5, vcc_hi, 0xaf123456, v255 ; encoding: [0x05,0x00,0x6d,0xd6,0x6b,0xfe,0xfd,0x07,0x56,0x34,0x12,0xaf]

v_maximumminimum_f32 v5, -|ttmp15|, -|src_scc|, -|ttmp15|
// GFX13: v_maximumminimum_f32 v5, -|ttmp15|, -|src_scc|, -|ttmp15| ; encoding: [0x05,0x07,0x6d,0xd6,0x7b,0xfa,0xed,0xe1]

v_maximumminimum_f32 v5, m0, 0.5, m0
// GFX13: v_maximumminimum_f32 v5, m0, 0.5, m0    ; encoding: [0x05,0x00,0x6d,0xd6,0x7d,0xe0,0xf5,0x01]

v_maximumminimum_f32 v5, |exec_lo|, -1, vcc_hi
// GFX13: v_maximumminimum_f32 v5, |exec_lo|, -1, vcc_hi ; encoding: [0x05,0x01,0x6d,0xd6,0x7e,0x82,0xad,0x01]

v_maximumminimum_f32 v5, -|exec_hi|, null, -|vcc_lo|
// GFX13: v_maximumminimum_f32 v5, -|exec_hi|, null, -|vcc_lo| ; encoding: [0x05,0x05,0x6d,0xd6,0x7f,0xf8,0xa8,0xa1]

v_maximumminimum_f32 v5, null, exec_lo, -|0xaf123456|
// GFX13: v_maximumminimum_f32 v5, null, exec_lo, -|0xaf123456| ; encoding: [0x05,0x04,0x6d,0xd6,0x7c,0xfc,0xfc,0x83,0x56,0x34,0x12,0xaf]

v_maximumminimum_f32 v5, -1, -|exec_hi|, -|src_scc|
// GFX13: v_maximumminimum_f32 v5, -1, -|exec_hi|, -|src_scc| ; encoding: [0x05,0x06,0x6d,0xd6,0xc1,0xfe,0xf4,0xc3]

v_maximumminimum_f32 v5, 0.5, -m0, 0.5 mul:2
// GFX13: v_maximumminimum_f32 v5, 0.5, -m0, 0.5 mul:2 ; encoding: [0x05,0x00,0x6d,0xd6,0xf0,0xfa,0xc0,0x4b]

v_maximumminimum_f32 v5, -src_scc, |vcc_lo|, -1 mul:4
// GFX13: v_maximumminimum_f32 v5, -src_scc, |vcc_lo|, -1 mul:4 ; encoding: [0x05,0x02,0x6d,0xd6,0xfd,0xd4,0x04,0x33]

v_maximumminimum_f32 v255, -|0xaf123456|, -|vcc_hi|, null clamp div:2
// GFX13: v_maximumminimum_f32 v255, -|0xaf123456|, -|vcc_hi|, null clamp div:2 ; encoding: [0xff,0x83,0x6d,0xd6,0xff,0xd6,0xf0,0x79,0x56,0x34,0x12,0xaf]

v_minimummaximum_f32 v5, v1, v2, s3
// GFX13: v_minimummaximum_f32 v5, v1, v2, s3     ; encoding: [0x05,0x00,0x6c,0xd6,0x01,0x05,0x0e,0x00]

v_minimummaximum_f32 v5, v255, s2, s105
// GFX13: v_minimummaximum_f32 v5, v255, s2, s105 ; encoding: [0x05,0x00,0x6c,0xd6,0xff,0x05,0xa4,0x01]

v_minimummaximum_f32 v5, s1, v255, exec_hi
// GFX13: v_minimummaximum_f32 v5, s1, v255, exec_hi ; encoding: [0x05,0x00,0x6c,0xd6,0x01,0xfe,0xff,0x01]

v_minimummaximum_f32 v5, s105, s105, exec_lo
// GFX13: v_minimummaximum_f32 v5, s105, s105, exec_lo ; encoding: [0x05,0x00,0x6c,0xd6,0x69,0xd2,0xf8,0x01]

v_minimummaximum_f32 v5, vcc_lo, ttmp15, v3
// GFX13: v_minimummaximum_f32 v5, vcc_lo, ttmp15, v3 ; encoding: [0x05,0x00,0x6c,0xd6,0x6a,0xf6,0x0c,0x04]

v_minimummaximum_f32 v5, vcc_hi, 0xaf123456, v255
// GFX13: v_minimummaximum_f32 v5, vcc_hi, 0xaf123456, v255 ; encoding: [0x05,0x00,0x6c,0xd6,0x6b,0xfe,0xfd,0x07,0x56,0x34,0x12,0xaf]

v_minimummaximum_f32 v5, -|ttmp15|, -|src_scc|, -|ttmp15|
// GFX13: v_minimummaximum_f32 v5, -|ttmp15|, -|src_scc|, -|ttmp15| ; encoding: [0x05,0x07,0x6c,0xd6,0x7b,0xfa,0xed,0xe1]

v_minimummaximum_f32 v5, m0, 0.5, m0
// GFX13: v_minimummaximum_f32 v5, m0, 0.5, m0    ; encoding: [0x05,0x00,0x6c,0xd6,0x7d,0xe0,0xf5,0x01]

v_minimummaximum_f32 v5, |exec_lo|, -1, vcc_hi
// GFX13: v_minimummaximum_f32 v5, |exec_lo|, -1, vcc_hi ; encoding: [0x05,0x01,0x6c,0xd6,0x7e,0x82,0xad,0x01]

v_minimummaximum_f32 v5, -|exec_hi|, null, -|vcc_lo|
// GFX13: v_minimummaximum_f32 v5, -|exec_hi|, null, -|vcc_lo| ; encoding: [0x05,0x05,0x6c,0xd6,0x7f,0xf8,0xa8,0xa1]

v_minimummaximum_f32 v5, null, exec_lo, -|0xaf123456|
// GFX13: v_minimummaximum_f32 v5, null, exec_lo, -|0xaf123456| ; encoding: [0x05,0x04,0x6c,0xd6,0x7c,0xfc,0xfc,0x83,0x56,0x34,0x12,0xaf]

v_minimummaximum_f32 v5, -1, -|exec_hi|, -|src_scc|
// GFX13: v_minimummaximum_f32 v5, -1, -|exec_hi|, -|src_scc| ; encoding: [0x05,0x06,0x6c,0xd6,0xc1,0xfe,0xf4,0xc3]

v_minimummaximum_f32 v5, 0.5, -m0, 0.5 mul:2
// GFX13: v_minimummaximum_f32 v5, 0.5, -m0, 0.5 mul:2 ; encoding: [0x05,0x00,0x6c,0xd6,0xf0,0xfa,0xc0,0x4b]

v_minimummaximum_f32 v5, -src_scc, |vcc_lo|, -1 mul:4
// GFX13: v_minimummaximum_f32 v5, -src_scc, |vcc_lo|, -1 mul:4 ; encoding: [0x05,0x02,0x6c,0xd6,0xfd,0xd4,0x04,0x33]

v_minimummaximum_f32 v255, -|0xaf123456|, -|vcc_hi|, null clamp div:2
// GFX13: v_minimummaximum_f32 v255, -|0xaf123456|, -|vcc_hi|, null clamp div:2 ; encoding: [0xff,0x83,0x6c,0xd6,0xff,0xd6,0xf0,0x79,0x56,0x34,0x12,0xaf]

v_maximumminimum_f16 v5, v1, v2, s3
// GFX13: v_maximumminimum_f16 v5, v1, v2, s3     ; encoding: [0x05,0x00,0x6f,0xd6,0x01,0x05,0x0e,0x00]

v_maximumminimum_f16 v5, v255, s2, s105
// GFX13: v_maximumminimum_f16 v5, v255, s2, s105 ; encoding: [0x05,0x00,0x6f,0xd6,0xff,0x05,0xa4,0x01]

v_maximumminimum_f16 v5, s1, v255, exec_hi
// GFX13: v_maximumminimum_f16 v5, s1, v255, exec_hi ; encoding: [0x05,0x00,0x6f,0xd6,0x01,0xfe,0xff,0x01]

v_maximumminimum_f16 v5, s105, s105, exec_lo
// GFX13: v_maximumminimum_f16 v5, s105, s105, exec_lo ; encoding: [0x05,0x00,0x6f,0xd6,0x69,0xd2,0xf8,0x01]

v_maximumminimum_f16 v5, vcc_lo, ttmp15, v3
// GFX13: v_maximumminimum_f16 v5, vcc_lo, ttmp15, v3 ; encoding: [0x05,0x00,0x6f,0xd6,0x6a,0xf6,0x0c,0x04]

v_maximumminimum_f16 v5, vcc_hi, 0xaf12, v255
// GFX13: v_maximumminimum_f16 v5, vcc_hi, 0xaf12, v255 ; encoding: [0x05,0x00,0x6f,0xd6,0x6b,0xfe,0xfd,0x07,0x12,0xaf,0x00,0x00]

v_maximumminimum_f16 v5, -|ttmp15|, -|src_scc|, -|ttmp15|
// GFX13: v_maximumminimum_f16 v5, -|ttmp15|, -|src_scc|, -|ttmp15| ; encoding: [0x05,0x07,0x6f,0xd6,0x7b,0xfa,0xed,0xe1]

v_maximumminimum_f16 v5, m0, 0.5, m0
// GFX13: v_maximumminimum_f16 v5, m0, 0.5, m0    ; encoding: [0x05,0x00,0x6f,0xd6,0x7d,0xe0,0xf5,0x01]

v_maximumminimum_f16 v5, |exec_lo|, -1, vcc_hi
// GFX13: v_maximumminimum_f16 v5, |exec_lo|, -1, vcc_hi ; encoding: [0x05,0x01,0x6f,0xd6,0x7e,0x82,0xad,0x01]

v_maximumminimum_f16 v5, -|exec_hi|, null, -|vcc_lo|
// GFX13: v_maximumminimum_f16 v5, -|exec_hi|, null, -|vcc_lo| ; encoding: [0x05,0x05,0x6f,0xd6,0x7f,0xf8,0xa8,0xa1]

v_maximumminimum_f16 v5, null, exec_lo, -|0xaf12|
// GFX13: v_maximumminimum_f16 v5, null, exec_lo, -|0xaf12| ; encoding: [0x05,0x04,0x6f,0xd6,0x7c,0xfc,0xfc,0x83,0x12,0xaf,0x00,0x00]

v_maximumminimum_f16 v5, -1, -|exec_hi|, -|src_scc|
// GFX13: v_maximumminimum_f16 v5, -1, -|exec_hi|, -|src_scc| ; encoding: [0x05,0x06,0x6f,0xd6,0xc1,0xfe,0xf4,0xc3]

v_maximumminimum_f16 v5, 0.5, -m0, 0.5
// GFX13: v_maximumminimum_f16 v5, 0.5, -m0, 0.5  ; encoding: [0x05,0x00,0x6f,0xd6,0xf0,0xfa,0xc0,0x43]

v_maximumminimum_f16 v5, -src_scc, |vcc_lo|, -1
// GFX13: v_maximumminimum_f16 v5, -src_scc, |vcc_lo|, -1 ; encoding: [0x05,0x02,0x6f,0xd6,0xfd,0xd4,0x04,0x23]

v_maximumminimum_f16 v255, -|0xaf12|, -|vcc_hi|, null clamp
// GFX13: v_maximumminimum_f16 v255, -|0xaf12|, -|vcc_hi|, null clamp ; encoding: [0xff,0x83,0x6f,0xd6,0xff,0xd6,0xf0,0x61,0x12,0xaf,0x00,0x00]

v_minimummaximum_f16 v5, v1, v2, s3
// GFX13: v_minimummaximum_f16 v5, v1, v2, s3     ; encoding: [0x05,0x00,0x6e,0xd6,0x01,0x05,0x0e,0x00]

v_minimummaximum_f16 v5, v255, s2, s105
// GFX13: v_minimummaximum_f16 v5, v255, s2, s105 ; encoding: [0x05,0x00,0x6e,0xd6,0xff,0x05,0xa4,0x01]

v_minimummaximum_f16 v5, s1, v255, exec_hi
// GFX13: v_minimummaximum_f16 v5, s1, v255, exec_hi ; encoding: [0x05,0x00,0x6e,0xd6,0x01,0xfe,0xff,0x01]

v_minimummaximum_f16 v5, s105, s105, exec_lo
// GFX13: v_minimummaximum_f16 v5, s105, s105, exec_lo ; encoding: [0x05,0x00,0x6e,0xd6,0x69,0xd2,0xf8,0x01]

v_minimummaximum_f16 v5, vcc_lo, ttmp15, v3
// GFX13: v_minimummaximum_f16 v5, vcc_lo, ttmp15, v3 ; encoding: [0x05,0x00,0x6e,0xd6,0x6a,0xf6,0x0c,0x04]

v_minimummaximum_f16 v5, vcc_hi, 0xaf12, v255
// GFX13: v_minimummaximum_f16 v5, vcc_hi, 0xaf12, v255 ; encoding: [0x05,0x00,0x6e,0xd6,0x6b,0xfe,0xfd,0x07,0x12,0xaf,0x00,0x00]

v_minimummaximum_f16 v5, -|ttmp15|, -|src_scc|, -|ttmp15|
// GFX13: v_minimummaximum_f16 v5, -|ttmp15|, -|src_scc|, -|ttmp15| ; encoding: [0x05,0x07,0x6e,0xd6,0x7b,0xfa,0xed,0xe1]

v_minimummaximum_f16 v5, m0, 0.5, m0
// GFX13: v_minimummaximum_f16 v5, m0, 0.5, m0    ; encoding: [0x05,0x00,0x6e,0xd6,0x7d,0xe0,0xf5,0x01]

v_minimummaximum_f16 v5, |exec_lo|, -1, vcc_hi
// GFX13: v_minimummaximum_f16 v5, |exec_lo|, -1, vcc_hi ; encoding: [0x05,0x01,0x6e,0xd6,0x7e,0x82,0xad,0x01]

v_minimummaximum_f16 v5, -|exec_hi|, null, -|vcc_lo|
// GFX13: v_minimummaximum_f16 v5, -|exec_hi|, null, -|vcc_lo| ; encoding: [0x05,0x05,0x6e,0xd6,0x7f,0xf8,0xa8,0xa1]

v_minimummaximum_f16 v5, null, exec_lo, -|0xaf12|
// GFX13: v_minimummaximum_f16 v5, null, exec_lo, -|0xaf12| ; encoding: [0x05,0x04,0x6e,0xd6,0x7c,0xfc,0xfc,0x83,0x12,0xaf,0x00,0x00]

v_minimummaximum_f16 v5, -1, -|exec_hi|, -|src_scc|
// GFX13: v_minimummaximum_f16 v5, -1, -|exec_hi|, -|src_scc| ; encoding: [0x05,0x06,0x6e,0xd6,0xc1,0xfe,0xf4,0xc3]

v_minimummaximum_f16 v5, 0.5, -m0, 0.5
// GFX13: v_minimummaximum_f16 v5, 0.5, -m0, 0.5  ; encoding: [0x05,0x00,0x6e,0xd6,0xf0,0xfa,0xc0,0x43]

v_minimummaximum_f16 v5, -src_scc, |vcc_lo|, -1
// GFX13: v_minimummaximum_f16 v5, -src_scc, |vcc_lo|, -1 ; encoding: [0x05,0x02,0x6e,0xd6,0xfd,0xd4,0x04,0x23]

v_s_exp_f32 s5, s1
// GFX13: v_s_exp_f32 s5, s1                      ; encoding: [0x05,0x00,0x80,0xd6,0x01,0x00,0x01,0x02]

v_s_exp_f32 s5, s105
// GFX13: v_s_exp_f32 s5, s105                    ; encoding: [0x05,0x00,0x80,0xd6,0x69,0x00,0x01,0x02]

v_s_exp_f32 s5, vcc_lo
// GFX13: v_s_exp_f32 s5, vcc_lo                  ; encoding: [0x05,0x00,0x80,0xd6,0x6a,0x00,0x01,0x02]

v_s_exp_f32 s5, vcc_hi
// GFX13: v_s_exp_f32 s5, vcc_hi                  ; encoding: [0x05,0x00,0x80,0xd6,0x6b,0x00,0x01,0x02]

v_s_exp_f32 s5, ttmp15
// GFX13: v_s_exp_f32 s5, ttmp15                  ; encoding: [0x05,0x00,0x80,0xd6,0x7b,0x00,0x01,0x02]

v_s_exp_f32 s5, m0
// GFX13: v_s_exp_f32 s5, m0                      ; encoding: [0x05,0x00,0x80,0xd6,0x7d,0x00,0x01,0x02]

v_s_exp_f32 s5, exec_lo
// GFX13: v_s_exp_f32 s5, exec_lo                 ; encoding: [0x05,0x00,0x80,0xd6,0x7e,0x00,0x01,0x02]

v_s_exp_f32 s5, exec_hi
// GFX13: v_s_exp_f32 s5, exec_hi                 ; encoding: [0x05,0x00,0x80,0xd6,0x7f,0x00,0x01,0x02]

v_s_exp_f32 s5, null
// GFX13: v_s_exp_f32 s5, null                    ; encoding: [0x05,0x00,0x80,0xd6,0x7c,0x00,0x01,0x02]

v_s_exp_f32 s5, -1
// GFX13: v_s_exp_f32 s5, -1                      ; encoding: [0x05,0x00,0x80,0xd6,0xc1,0x00,0x01,0x02]

v_s_exp_f32 s5, 0.5
// GFX13: v_s_exp_f32 s5, 0.5                     ; encoding: [0x05,0x00,0x80,0xd6,0xf0,0x00,0x01,0x02]

v_s_exp_f32 s5, src_scc
// GFX13: v_s_exp_f32 s5, src_scc                 ; encoding: [0x05,0x00,0x80,0xd6,0xfd,0x00,0x01,0x02]

v_s_exp_f32 s105, 0xaf123456
// GFX13: v_s_exp_f32 s105, 0xaf123456            ; encoding: [0x69,0x00,0x80,0xd6,0xff,0x00,0x01,0x02,0x56,0x34,0x12,0xaf]

v_s_exp_f32 s5, -s1
// GFX13: v_s_exp_f32 s5, -s1                     ; encoding: [0x05,0x00,0x80,0xd6,0x01,0x00,0x01,0x22]

v_s_exp_f32 s5, |s1|
// GFX13: v_s_exp_f32 s5, |s1|                    ; encoding: [0x05,0x01,0x80,0xd6,0x01,0x00,0x01,0x02]

v_s_exp_f32 s5, s1 clamp
// GFX13: v_s_exp_f32 s5, s1 clamp                ; encoding: [0x05,0x80,0x80,0xd6,0x01,0x00,0x01,0x02]

v_s_exp_f32 s5, s1 mul:2
// GFX13: v_s_exp_f32 s5, s1 mul:2                ; encoding: [0x05,0x00,0x80,0xd6,0x01,0x00,0x01,0x0a]

v_s_exp_f32 s5, s1 mul:4
// GFX13: v_s_exp_f32 s5, s1 mul:4                ; encoding: [0x05,0x00,0x80,0xd6,0x01,0x00,0x01,0x12]

v_s_exp_f32 s5, s1 div:2
// GFX13: v_s_exp_f32 s5, s1 div:2                ; encoding: [0x05,0x00,0x80,0xd6,0x01,0x00,0x01,0x1a]

v_s_exp_f16 s5, s1
// GFX13: v_s_exp_f16 s5, s1                      ; encoding: [0x05,0x00,0x81,0xd6,0x01,0x00,0x01,0x02]

v_s_exp_f16 s5, s105
// GFX13: v_s_exp_f16 s5, s105                    ; encoding: [0x05,0x00,0x81,0xd6,0x69,0x00,0x01,0x02]

v_s_exp_f16 s5, vcc_lo
// GFX13: v_s_exp_f16 s5, vcc_lo                  ; encoding: [0x05,0x00,0x81,0xd6,0x6a,0x00,0x01,0x02]

v_s_exp_f16 s5, vcc_hi
// GFX13: v_s_exp_f16 s5, vcc_hi                  ; encoding: [0x05,0x00,0x81,0xd6,0x6b,0x00,0x01,0x02]

v_s_exp_f16 s5, ttmp15
// GFX13: v_s_exp_f16 s5, ttmp15                  ; encoding: [0x05,0x00,0x81,0xd6,0x7b,0x00,0x01,0x02]

v_s_exp_f16 s5, m0
// GFX13: v_s_exp_f16 s5, m0                      ; encoding: [0x05,0x00,0x81,0xd6,0x7d,0x00,0x01,0x02]

v_s_exp_f16 s5, exec_lo
// GFX13: v_s_exp_f16 s5, exec_lo                 ; encoding: [0x05,0x00,0x81,0xd6,0x7e,0x00,0x01,0x02]

v_s_exp_f16 s5, exec_hi
// GFX13: v_s_exp_f16 s5, exec_hi                 ; encoding: [0x05,0x00,0x81,0xd6,0x7f,0x00,0x01,0x02]

v_s_exp_f16 s5, null
// GFX13: v_s_exp_f16 s5, null                    ; encoding: [0x05,0x00,0x81,0xd6,0x7c,0x00,0x01,0x02]

v_s_exp_f16 s5, -1
// GFX13: v_s_exp_f16 s5, -1                      ; encoding: [0x05,0x00,0x81,0xd6,0xc1,0x00,0x01,0x02]

v_s_exp_f16 s5, 0.5
// GFX13: v_s_exp_f16 s5, 0.5                     ; encoding: [0x05,0x00,0x81,0xd6,0xf0,0x00,0x01,0x02]

v_s_exp_f16 s5, src_scc
// GFX13: v_s_exp_f16 s5, src_scc                 ; encoding: [0x05,0x00,0x81,0xd6,0xfd,0x00,0x01,0x02]

v_s_exp_f16 s105, 0xaf12
// GFX13: v_s_exp_f16 s105, 0xaf12                ; encoding: [0x69,0x00,0x81,0xd6,0xff,0x00,0x01,0x02,0x12,0xaf,0x00,0x00]

v_s_exp_f16 s5, -s1
// GFX13: v_s_exp_f16 s5, -s1                     ; encoding: [0x05,0x00,0x81,0xd6,0x01,0x00,0x01,0x22]

v_s_exp_f16 s5, |s1|
// GFX13: v_s_exp_f16 s5, |s1|                    ; encoding: [0x05,0x01,0x81,0xd6,0x01,0x00,0x01,0x02]

v_s_exp_f16 s5, s1 clamp
// GFX13: v_s_exp_f16 s5, s1 clamp                ; encoding: [0x05,0x80,0x81,0xd6,0x01,0x00,0x01,0x02]

v_s_exp_f16 s5, s1 mul:2
// GFX13: v_s_exp_f16 s5, s1 mul:2                ; encoding: [0x05,0x00,0x81,0xd6,0x01,0x00,0x01,0x0a]

v_s_exp_f16 s5, s1 mul:4
// GFX13: v_s_exp_f16 s5, s1 mul:4                ; encoding: [0x05,0x00,0x81,0xd6,0x01,0x00,0x01,0x12]

v_s_exp_f16 s5, s1 div:2
// GFX13: v_s_exp_f16 s5, s1 div:2                ; encoding: [0x05,0x00,0x81,0xd6,0x01,0x00,0x01,0x1a]

v_s_log_f32 s5, s1
// GFX13: v_s_log_f32 s5, s1                      ; encoding: [0x05,0x00,0x82,0xd6,0x01,0x00,0x01,0x02]

v_s_log_f32 s5, s105
// GFX13: v_s_log_f32 s5, s105                    ; encoding: [0x05,0x00,0x82,0xd6,0x69,0x00,0x01,0x02]

v_s_log_f32 s5, vcc_lo
// GFX13: v_s_log_f32 s5, vcc_lo                  ; encoding: [0x05,0x00,0x82,0xd6,0x6a,0x00,0x01,0x02]

v_s_log_f32 s5, vcc_hi
// GFX13: v_s_log_f32 s5, vcc_hi                  ; encoding: [0x05,0x00,0x82,0xd6,0x6b,0x00,0x01,0x02]

v_s_log_f32 s5, ttmp15
// GFX13: v_s_log_f32 s5, ttmp15                  ; encoding: [0x05,0x00,0x82,0xd6,0x7b,0x00,0x01,0x02]

v_s_log_f32 s5, m0
// GFX13: v_s_log_f32 s5, m0                      ; encoding: [0x05,0x00,0x82,0xd6,0x7d,0x00,0x01,0x02]

v_s_log_f32 s5, exec_lo
// GFX13: v_s_log_f32 s5, exec_lo                 ; encoding: [0x05,0x00,0x82,0xd6,0x7e,0x00,0x01,0x02]

v_s_log_f32 s5, exec_hi
// GFX13: v_s_log_f32 s5, exec_hi                 ; encoding: [0x05,0x00,0x82,0xd6,0x7f,0x00,0x01,0x02]

v_s_log_f32 s5, null
// GFX13: v_s_log_f32 s5, null                    ; encoding: [0x05,0x00,0x82,0xd6,0x7c,0x00,0x01,0x02]

v_s_log_f32 s5, -1
// GFX13: v_s_log_f32 s5, -1                      ; encoding: [0x05,0x00,0x82,0xd6,0xc1,0x00,0x01,0x02]

v_s_log_f32 s5, 0.5
// GFX13: v_s_log_f32 s5, 0.5                     ; encoding: [0x05,0x00,0x82,0xd6,0xf0,0x00,0x01,0x02]

v_s_log_f32 s5, src_scc
// GFX13: v_s_log_f32 s5, src_scc                 ; encoding: [0x05,0x00,0x82,0xd6,0xfd,0x00,0x01,0x02]

v_s_log_f32 s105, 0xaf123456
// GFX13: v_s_log_f32 s105, 0xaf123456            ; encoding: [0x69,0x00,0x82,0xd6,0xff,0x00,0x01,0x02,0x56,0x34,0x12,0xaf]

v_s_log_f32 s5, -s1
// GFX13: v_s_log_f32 s5, -s1                     ; encoding: [0x05,0x00,0x82,0xd6,0x01,0x00,0x01,0x22]

v_s_log_f32 s5, |s1|
// GFX13: v_s_log_f32 s5, |s1|                    ; encoding: [0x05,0x01,0x82,0xd6,0x01,0x00,0x01,0x02]

v_s_log_f32 s5, s1 clamp
// GFX13: v_s_log_f32 s5, s1 clamp                ; encoding: [0x05,0x80,0x82,0xd6,0x01,0x00,0x01,0x02]

v_s_log_f32 s5, s1 mul:2
// GFX13: v_s_log_f32 s5, s1 mul:2                ; encoding: [0x05,0x00,0x82,0xd6,0x01,0x00,0x01,0x0a]

v_s_log_f32 s5, s1 mul:4
// GFX13: v_s_log_f32 s5, s1 mul:4                ; encoding: [0x05,0x00,0x82,0xd6,0x01,0x00,0x01,0x12]

v_s_log_f32 s5, s1 div:2
// GFX13: v_s_log_f32 s5, s1 div:2                ; encoding: [0x05,0x00,0x82,0xd6,0x01,0x00,0x01,0x1a]

v_s_log_f16 s5, s1
// GFX13: v_s_log_f16 s5, s1                      ; encoding: [0x05,0x00,0x83,0xd6,0x01,0x00,0x01,0x02]

v_s_log_f16 s5, s105
// GFX13: v_s_log_f16 s5, s105                    ; encoding: [0x05,0x00,0x83,0xd6,0x69,0x00,0x01,0x02]

v_s_log_f16 s5, vcc_lo
// GFX13: v_s_log_f16 s5, vcc_lo                  ; encoding: [0x05,0x00,0x83,0xd6,0x6a,0x00,0x01,0x02]

v_s_log_f16 s5, vcc_hi
// GFX13: v_s_log_f16 s5, vcc_hi                  ; encoding: [0x05,0x00,0x83,0xd6,0x6b,0x00,0x01,0x02]

v_s_log_f16 s5, ttmp15
// GFX13: v_s_log_f16 s5, ttmp15                  ; encoding: [0x05,0x00,0x83,0xd6,0x7b,0x00,0x01,0x02]

v_s_log_f16 s5, m0
// GFX13: v_s_log_f16 s5, m0                      ; encoding: [0x05,0x00,0x83,0xd6,0x7d,0x00,0x01,0x02]

v_s_log_f16 s5, exec_lo
// GFX13: v_s_log_f16 s5, exec_lo                 ; encoding: [0x05,0x00,0x83,0xd6,0x7e,0x00,0x01,0x02]

v_s_log_f16 s5, exec_hi
// GFX13: v_s_log_f16 s5, exec_hi                 ; encoding: [0x05,0x00,0x83,0xd6,0x7f,0x00,0x01,0x02]

v_s_log_f16 s5, null
// GFX13: v_s_log_f16 s5, null                    ; encoding: [0x05,0x00,0x83,0xd6,0x7c,0x00,0x01,0x02]

v_s_log_f16 s5, -1
// GFX13: v_s_log_f16 s5, -1                      ; encoding: [0x05,0x00,0x83,0xd6,0xc1,0x00,0x01,0x02]

v_s_log_f16 s5, 0.5
// GFX13: v_s_log_f16 s5, 0.5                     ; encoding: [0x05,0x00,0x83,0xd6,0xf0,0x00,0x01,0x02]

v_s_log_f16 s5, src_scc
// GFX13: v_s_log_f16 s5, src_scc                 ; encoding: [0x05,0x00,0x83,0xd6,0xfd,0x00,0x01,0x02]

v_s_log_f16 s105, 0xaf12
// GFX13: v_s_log_f16 s105, 0xaf12                ; encoding: [0x69,0x00,0x83,0xd6,0xff,0x00,0x01,0x02,0x12,0xaf,0x00,0x00]

v_s_log_f16 s5, -s1
// GFX13: v_s_log_f16 s5, -s1                     ; encoding: [0x05,0x00,0x83,0xd6,0x01,0x00,0x01,0x22]

v_s_log_f16 s5, |s1|
// GFX13: v_s_log_f16 s5, |s1|                    ; encoding: [0x05,0x01,0x83,0xd6,0x01,0x00,0x01,0x02]

v_s_log_f16 s5, s1 clamp
// GFX13: v_s_log_f16 s5, s1 clamp                ; encoding: [0x05,0x80,0x83,0xd6,0x01,0x00,0x01,0x02]

v_s_log_f16 s5, s1 mul:2
// GFX13: v_s_log_f16 s5, s1 mul:2                ; encoding: [0x05,0x00,0x83,0xd6,0x01,0x00,0x01,0x0a]

v_s_log_f16 s5, s1 mul:4
// GFX13: v_s_log_f16 s5, s1 mul:4                ; encoding: [0x05,0x00,0x83,0xd6,0x01,0x00,0x01,0x12]

v_s_log_f16 s5, s1 div:2
// GFX13: v_s_log_f16 s5, s1 div:2                ; encoding: [0x05,0x00,0x83,0xd6,0x01,0x00,0x01,0x1a]

v_s_rcp_f32 s5, s1
// GFX13: v_s_rcp_f32 s5, s1                      ; encoding: [0x05,0x00,0x84,0xd6,0x01,0x00,0x01,0x02]

v_s_rcp_f32 s5, s105
// GFX13: v_s_rcp_f32 s5, s105                    ; encoding: [0x05,0x00,0x84,0xd6,0x69,0x00,0x01,0x02]

v_s_rcp_f32 s5, vcc_lo
// GFX13: v_s_rcp_f32 s5, vcc_lo                  ; encoding: [0x05,0x00,0x84,0xd6,0x6a,0x00,0x01,0x02]

v_s_rcp_f32 s5, vcc_hi
// GFX13: v_s_rcp_f32 s5, vcc_hi                  ; encoding: [0x05,0x00,0x84,0xd6,0x6b,0x00,0x01,0x02]

v_s_rcp_f32 s5, ttmp15
// GFX13: v_s_rcp_f32 s5, ttmp15                  ; encoding: [0x05,0x00,0x84,0xd6,0x7b,0x00,0x01,0x02]

v_s_rcp_f32 s5, m0
// GFX13: v_s_rcp_f32 s5, m0                      ; encoding: [0x05,0x00,0x84,0xd6,0x7d,0x00,0x01,0x02]

v_s_rcp_f32 s5, exec_lo
// GFX13: v_s_rcp_f32 s5, exec_lo                 ; encoding: [0x05,0x00,0x84,0xd6,0x7e,0x00,0x01,0x02]

v_s_rcp_f32 s5, exec_hi
// GFX13: v_s_rcp_f32 s5, exec_hi                 ; encoding: [0x05,0x00,0x84,0xd6,0x7f,0x00,0x01,0x02]

v_s_rcp_f32 s5, null
// GFX13: v_s_rcp_f32 s5, null                    ; encoding: [0x05,0x00,0x84,0xd6,0x7c,0x00,0x01,0x02]

v_s_rcp_f32 s5, -1
// GFX13: v_s_rcp_f32 s5, -1                      ; encoding: [0x05,0x00,0x84,0xd6,0xc1,0x00,0x01,0x02]

v_s_rcp_f32 s5, 0.5
// GFX13: v_s_rcp_f32 s5, 0.5                     ; encoding: [0x05,0x00,0x84,0xd6,0xf0,0x00,0x01,0x02]

v_s_rcp_f32 s5, src_scc
// GFX13: v_s_rcp_f32 s5, src_scc                 ; encoding: [0x05,0x00,0x84,0xd6,0xfd,0x00,0x01,0x02]

v_s_rcp_f32 s105, 0xaf123456
// GFX13: v_s_rcp_f32 s105, 0xaf123456            ; encoding: [0x69,0x00,0x84,0xd6,0xff,0x00,0x01,0x02,0x56,0x34,0x12,0xaf]

v_s_rcp_f32 s5, -s1
// GFX13: v_s_rcp_f32 s5, -s1                     ; encoding: [0x05,0x00,0x84,0xd6,0x01,0x00,0x01,0x22]

v_s_rcp_f32 s5, |s1|
// GFX13: v_s_rcp_f32 s5, |s1|                    ; encoding: [0x05,0x01,0x84,0xd6,0x01,0x00,0x01,0x02]

v_s_rcp_f32 s5, s1 clamp
// GFX13: v_s_rcp_f32 s5, s1 clamp                ; encoding: [0x05,0x80,0x84,0xd6,0x01,0x00,0x01,0x02]

v_s_rcp_f32 s5, s1 mul:2
// GFX13: v_s_rcp_f32 s5, s1 mul:2                ; encoding: [0x05,0x00,0x84,0xd6,0x01,0x00,0x01,0x0a]

v_s_rcp_f32 s5, s1 mul:4
// GFX13: v_s_rcp_f32 s5, s1 mul:4                ; encoding: [0x05,0x00,0x84,0xd6,0x01,0x00,0x01,0x12]

v_s_rcp_f32 s5, s1 div:2
// GFX13: v_s_rcp_f32 s5, s1 div:2                ; encoding: [0x05,0x00,0x84,0xd6,0x01,0x00,0x01,0x1a]

v_s_rcp_f16 s5, s1
// GFX13: v_s_rcp_f16 s5, s1                      ; encoding: [0x05,0x00,0x85,0xd6,0x01,0x00,0x01,0x02]

v_s_rcp_f16 s5, s105
// GFX13: v_s_rcp_f16 s5, s105                    ; encoding: [0x05,0x00,0x85,0xd6,0x69,0x00,0x01,0x02]

v_s_rcp_f16 s5, vcc_lo
// GFX13: v_s_rcp_f16 s5, vcc_lo                  ; encoding: [0x05,0x00,0x85,0xd6,0x6a,0x00,0x01,0x02]

v_s_rcp_f16 s5, vcc_hi
// GFX13: v_s_rcp_f16 s5, vcc_hi                  ; encoding: [0x05,0x00,0x85,0xd6,0x6b,0x00,0x01,0x02]

v_s_rcp_f16 s5, ttmp15
// GFX13: v_s_rcp_f16 s5, ttmp15                  ; encoding: [0x05,0x00,0x85,0xd6,0x7b,0x00,0x01,0x02]

v_s_rcp_f16 s5, m0
// GFX13: v_s_rcp_f16 s5, m0                      ; encoding: [0x05,0x00,0x85,0xd6,0x7d,0x00,0x01,0x02]

v_s_rcp_f16 s5, exec_lo
// GFX13: v_s_rcp_f16 s5, exec_lo                 ; encoding: [0x05,0x00,0x85,0xd6,0x7e,0x00,0x01,0x02]

v_s_rcp_f16 s5, exec_hi
// GFX13: v_s_rcp_f16 s5, exec_hi                 ; encoding: [0x05,0x00,0x85,0xd6,0x7f,0x00,0x01,0x02]

v_s_rcp_f16 s5, null
// GFX13: v_s_rcp_f16 s5, null                    ; encoding: [0x05,0x00,0x85,0xd6,0x7c,0x00,0x01,0x02]

v_s_rcp_f16 s5, -1
// GFX13: v_s_rcp_f16 s5, -1                      ; encoding: [0x05,0x00,0x85,0xd6,0xc1,0x00,0x01,0x02]

v_s_rcp_f16 s5, 0.5
// GFX13: v_s_rcp_f16 s5, 0.5                     ; encoding: [0x05,0x00,0x85,0xd6,0xf0,0x00,0x01,0x02]

v_s_rcp_f16 s5, src_scc
// GFX13: v_s_rcp_f16 s5, src_scc                 ; encoding: [0x05,0x00,0x85,0xd6,0xfd,0x00,0x01,0x02]

v_s_rcp_f16 s105, 0xaf12
// GFX13: v_s_rcp_f16 s105, 0xaf12                ; encoding: [0x69,0x00,0x85,0xd6,0xff,0x00,0x01,0x02,0x12,0xaf,0x00,0x00]

v_s_rcp_f16 s5, -s1
// GFX13: v_s_rcp_f16 s5, -s1                     ; encoding: [0x05,0x00,0x85,0xd6,0x01,0x00,0x01,0x22]

v_s_rcp_f16 s5, |s1|
// GFX13: v_s_rcp_f16 s5, |s1|                    ; encoding: [0x05,0x01,0x85,0xd6,0x01,0x00,0x01,0x02]

v_s_rcp_f16 s5, s1 clamp
// GFX13: v_s_rcp_f16 s5, s1 clamp                ; encoding: [0x05,0x80,0x85,0xd6,0x01,0x00,0x01,0x02]

v_s_rcp_f16 s5, s1 mul:2
// GFX13: v_s_rcp_f16 s5, s1 mul:2                ; encoding: [0x05,0x00,0x85,0xd6,0x01,0x00,0x01,0x0a]

v_s_rcp_f16 s5, s1 mul:4
// GFX13: v_s_rcp_f16 s5, s1 mul:4                ; encoding: [0x05,0x00,0x85,0xd6,0x01,0x00,0x01,0x12]

v_s_rcp_f16 s5, s1 div:2
// GFX13: v_s_rcp_f16 s5, s1 div:2                ; encoding: [0x05,0x00,0x85,0xd6,0x01,0x00,0x01,0x1a]

v_s_rsq_f32 s5, s1
// GFX13: v_s_rsq_f32 s5, s1                      ; encoding: [0x05,0x00,0x86,0xd6,0x01,0x00,0x01,0x02]

v_s_rsq_f32 s5, s105
// GFX13: v_s_rsq_f32 s5, s105                    ; encoding: [0x05,0x00,0x86,0xd6,0x69,0x00,0x01,0x02]

v_s_rsq_f32 s5, vcc_lo
// GFX13: v_s_rsq_f32 s5, vcc_lo                  ; encoding: [0x05,0x00,0x86,0xd6,0x6a,0x00,0x01,0x02]

v_s_rsq_f32 s5, vcc_hi
// GFX13: v_s_rsq_f32 s5, vcc_hi                  ; encoding: [0x05,0x00,0x86,0xd6,0x6b,0x00,0x01,0x02]

v_s_rsq_f32 s5, ttmp15
// GFX13: v_s_rsq_f32 s5, ttmp15                  ; encoding: [0x05,0x00,0x86,0xd6,0x7b,0x00,0x01,0x02]

v_s_rsq_f32 s5, m0
// GFX13: v_s_rsq_f32 s5, m0                      ; encoding: [0x05,0x00,0x86,0xd6,0x7d,0x00,0x01,0x02]

v_s_rsq_f32 s5, exec_lo
// GFX13: v_s_rsq_f32 s5, exec_lo                 ; encoding: [0x05,0x00,0x86,0xd6,0x7e,0x00,0x01,0x02]

v_s_rsq_f32 s5, exec_hi
// GFX13: v_s_rsq_f32 s5, exec_hi                 ; encoding: [0x05,0x00,0x86,0xd6,0x7f,0x00,0x01,0x02]

v_s_rsq_f32 s5, null
// GFX13: v_s_rsq_f32 s5, null                    ; encoding: [0x05,0x00,0x86,0xd6,0x7c,0x00,0x01,0x02]

v_s_rsq_f32 s5, -1
// GFX13: v_s_rsq_f32 s5, -1                      ; encoding: [0x05,0x00,0x86,0xd6,0xc1,0x00,0x01,0x02]

v_s_rsq_f32 s5, 0.5
// GFX13: v_s_rsq_f32 s5, 0.5                     ; encoding: [0x05,0x00,0x86,0xd6,0xf0,0x00,0x01,0x02]

v_s_rsq_f32 s5, src_scc
// GFX13: v_s_rsq_f32 s5, src_scc                 ; encoding: [0x05,0x00,0x86,0xd6,0xfd,0x00,0x01,0x02]

v_s_rsq_f32 s105, 0xaf123456
// GFX13: v_s_rsq_f32 s105, 0xaf123456            ; encoding: [0x69,0x00,0x86,0xd6,0xff,0x00,0x01,0x02,0x56,0x34,0x12,0xaf]

v_s_rsq_f32 s5, -s1
// GFX13: v_s_rsq_f32 s5, -s1                     ; encoding: [0x05,0x00,0x86,0xd6,0x01,0x00,0x01,0x22]

v_s_rsq_f32 s5, |s1|
// GFX13: v_s_rsq_f32 s5, |s1|                    ; encoding: [0x05,0x01,0x86,0xd6,0x01,0x00,0x01,0x02]

v_s_rsq_f32 s5, s1 clamp
// GFX13: v_s_rsq_f32 s5, s1 clamp                ; encoding: [0x05,0x80,0x86,0xd6,0x01,0x00,0x01,0x02]

v_s_rsq_f32 s5, s1 mul:2
// GFX13: v_s_rsq_f32 s5, s1 mul:2                ; encoding: [0x05,0x00,0x86,0xd6,0x01,0x00,0x01,0x0a]

v_s_rsq_f32 s5, s1 mul:4
// GFX13: v_s_rsq_f32 s5, s1 mul:4                ; encoding: [0x05,0x00,0x86,0xd6,0x01,0x00,0x01,0x12]

v_s_rsq_f32 s5, s1 div:2
// GFX13: v_s_rsq_f32 s5, s1 div:2                ; encoding: [0x05,0x00,0x86,0xd6,0x01,0x00,0x01,0x1a]

v_s_rsq_f16 s5, s1
// GFX13: v_s_rsq_f16 s5, s1                      ; encoding: [0x05,0x00,0x87,0xd6,0x01,0x00,0x01,0x02]

v_s_rsq_f16 s5, s105
// GFX13: v_s_rsq_f16 s5, s105                    ; encoding: [0x05,0x00,0x87,0xd6,0x69,0x00,0x01,0x02]

v_s_rsq_f16 s5, vcc_lo
// GFX13: v_s_rsq_f16 s5, vcc_lo                  ; encoding: [0x05,0x00,0x87,0xd6,0x6a,0x00,0x01,0x02]

v_s_rsq_f16 s5, vcc_hi
// GFX13: v_s_rsq_f16 s5, vcc_hi                  ; encoding: [0x05,0x00,0x87,0xd6,0x6b,0x00,0x01,0x02]

v_s_rsq_f16 s5, ttmp15
// GFX13: v_s_rsq_f16 s5, ttmp15                  ; encoding: [0x05,0x00,0x87,0xd6,0x7b,0x00,0x01,0x02]

v_s_rsq_f16 s5, m0
// GFX13: v_s_rsq_f16 s5, m0                      ; encoding: [0x05,0x00,0x87,0xd6,0x7d,0x00,0x01,0x02]

v_s_rsq_f16 s5, exec_lo
// GFX13: v_s_rsq_f16 s5, exec_lo                 ; encoding: [0x05,0x00,0x87,0xd6,0x7e,0x00,0x01,0x02]

v_s_rsq_f16 s5, exec_hi
// GFX13: v_s_rsq_f16 s5, exec_hi                 ; encoding: [0x05,0x00,0x87,0xd6,0x7f,0x00,0x01,0x02]

v_s_rsq_f16 s5, null
// GFX13: v_s_rsq_f16 s5, null                    ; encoding: [0x05,0x00,0x87,0xd6,0x7c,0x00,0x01,0x02]

v_s_rsq_f16 s5, -1
// GFX13: v_s_rsq_f16 s5, -1                      ; encoding: [0x05,0x00,0x87,0xd6,0xc1,0x00,0x01,0x02]

v_s_rsq_f16 s5, 0.5
// GFX13: v_s_rsq_f16 s5, 0.5                     ; encoding: [0x05,0x00,0x87,0xd6,0xf0,0x00,0x01,0x02]

v_s_rsq_f16 s5, src_scc
// GFX13: v_s_rsq_f16 s5, src_scc                 ; encoding: [0x05,0x00,0x87,0xd6,0xfd,0x00,0x01,0x02]

v_s_rsq_f16 s105, 0xaf12
// GFX13: v_s_rsq_f16 s105, 0xaf12                ; encoding: [0x69,0x00,0x87,0xd6,0xff,0x00,0x01,0x02,0x12,0xaf,0x00,0x00]

v_s_rsq_f16 s5, -s1
// GFX13: v_s_rsq_f16 s5, -s1                     ; encoding: [0x05,0x00,0x87,0xd6,0x01,0x00,0x01,0x22]

v_s_rsq_f16 s5, |s1|
// GFX13: v_s_rsq_f16 s5, |s1|                    ; encoding: [0x05,0x01,0x87,0xd6,0x01,0x00,0x01,0x02]

v_s_rsq_f16 s5, s1 clamp
// GFX13: v_s_rsq_f16 s5, s1 clamp                ; encoding: [0x05,0x80,0x87,0xd6,0x01,0x00,0x01,0x02]

v_s_rsq_f16 s5, s1 mul:2
// GFX13: v_s_rsq_f16 s5, s1 mul:2                ; encoding: [0x05,0x00,0x87,0xd6,0x01,0x00,0x01,0x0a]

v_s_rsq_f16 s5, s1 mul:4
// GFX13: v_s_rsq_f16 s5, s1 mul:4                ; encoding: [0x05,0x00,0x87,0xd6,0x01,0x00,0x01,0x12]

v_s_rsq_f16 s5, s1 div:2
// GFX13: v_s_rsq_f16 s5, s1 div:2                ; encoding: [0x05,0x00,0x87,0xd6,0x01,0x00,0x01,0x1a]

v_s_sqrt_f32 s5, s1
// GFX13: v_s_sqrt_f32 s5, s1                     ; encoding: [0x05,0x00,0x88,0xd6,0x01,0x00,0x01,0x02]

v_s_sqrt_f32 s5, s105
// GFX13: v_s_sqrt_f32 s5, s105                   ; encoding: [0x05,0x00,0x88,0xd6,0x69,0x00,0x01,0x02]

v_s_sqrt_f32 s5, vcc_lo
// GFX13: v_s_sqrt_f32 s5, vcc_lo                 ; encoding: [0x05,0x00,0x88,0xd6,0x6a,0x00,0x01,0x02]

v_s_sqrt_f32 s5, vcc_hi
// GFX13: v_s_sqrt_f32 s5, vcc_hi                 ; encoding: [0x05,0x00,0x88,0xd6,0x6b,0x00,0x01,0x02]

v_s_sqrt_f32 s5, ttmp15
// GFX13: v_s_sqrt_f32 s5, ttmp15                 ; encoding: [0x05,0x00,0x88,0xd6,0x7b,0x00,0x01,0x02]

v_s_sqrt_f32 s5, m0
// GFX13: v_s_sqrt_f32 s5, m0                     ; encoding: [0x05,0x00,0x88,0xd6,0x7d,0x00,0x01,0x02]

v_s_sqrt_f32 s5, exec_lo
// GFX13: v_s_sqrt_f32 s5, exec_lo                ; encoding: [0x05,0x00,0x88,0xd6,0x7e,0x00,0x01,0x02]

v_s_sqrt_f32 s5, exec_hi
// GFX13: v_s_sqrt_f32 s5, exec_hi                ; encoding: [0x05,0x00,0x88,0xd6,0x7f,0x00,0x01,0x02]

v_s_sqrt_f32 s5, null
// GFX13: v_s_sqrt_f32 s5, null                   ; encoding: [0x05,0x00,0x88,0xd6,0x7c,0x00,0x01,0x02]

v_s_sqrt_f32 s5, -1
// GFX13: v_s_sqrt_f32 s5, -1                     ; encoding: [0x05,0x00,0x88,0xd6,0xc1,0x00,0x01,0x02]

v_s_sqrt_f32 s5, 0.5
// GFX13: v_s_sqrt_f32 s5, 0.5                    ; encoding: [0x05,0x00,0x88,0xd6,0xf0,0x00,0x01,0x02]

v_s_sqrt_f32 s5, src_scc
// GFX13: v_s_sqrt_f32 s5, src_scc                ; encoding: [0x05,0x00,0x88,0xd6,0xfd,0x00,0x01,0x02]

v_s_sqrt_f32 s105, 0xaf123456
// GFX13: v_s_sqrt_f32 s105, 0xaf123456           ; encoding: [0x69,0x00,0x88,0xd6,0xff,0x00,0x01,0x02,0x56,0x34,0x12,0xaf]

v_s_sqrt_f32 s5, -s1
// GFX13: v_s_sqrt_f32 s5, -s1                    ; encoding: [0x05,0x00,0x88,0xd6,0x01,0x00,0x01,0x22]

v_s_sqrt_f32 s5, |s1|
// GFX13: v_s_sqrt_f32 s5, |s1|                   ; encoding: [0x05,0x01,0x88,0xd6,0x01,0x00,0x01,0x02]

v_s_sqrt_f32 s5, s1 clamp
// GFX13: v_s_sqrt_f32 s5, s1 clamp               ; encoding: [0x05,0x80,0x88,0xd6,0x01,0x00,0x01,0x02]

v_s_sqrt_f32 s5, s1 mul:2
// GFX13: v_s_sqrt_f32 s5, s1 mul:2               ; encoding: [0x05,0x00,0x88,0xd6,0x01,0x00,0x01,0x0a]

v_s_sqrt_f32 s5, s1 mul:4
// GFX13: v_s_sqrt_f32 s5, s1 mul:4               ; encoding: [0x05,0x00,0x88,0xd6,0x01,0x00,0x01,0x12]

v_s_sqrt_f32 s5, s1 div:2
// GFX13: v_s_sqrt_f32 s5, s1 div:2               ; encoding: [0x05,0x00,0x88,0xd6,0x01,0x00,0x01,0x1a]

v_s_sqrt_f16 s5, s1
// GFX13: v_s_sqrt_f16 s5, s1                     ; encoding: [0x05,0x00,0x89,0xd6,0x01,0x00,0x01,0x02]

v_s_sqrt_f16 s5, s105
// GFX13: v_s_sqrt_f16 s5, s105                   ; encoding: [0x05,0x00,0x89,0xd6,0x69,0x00,0x01,0x02]

v_s_sqrt_f16 s5, vcc_lo
// GFX13: v_s_sqrt_f16 s5, vcc_lo                 ; encoding: [0x05,0x00,0x89,0xd6,0x6a,0x00,0x01,0x02]

v_s_sqrt_f16 s5, vcc_hi
// GFX13: v_s_sqrt_f16 s5, vcc_hi                 ; encoding: [0x05,0x00,0x89,0xd6,0x6b,0x00,0x01,0x02]

v_s_sqrt_f16 s5, ttmp15
// GFX13: v_s_sqrt_f16 s5, ttmp15                 ; encoding: [0x05,0x00,0x89,0xd6,0x7b,0x00,0x01,0x02]

v_s_sqrt_f16 s5, m0
// GFX13: v_s_sqrt_f16 s5, m0                     ; encoding: [0x05,0x00,0x89,0xd6,0x7d,0x00,0x01,0x02]

v_s_sqrt_f16 s5, exec_lo
// GFX13: v_s_sqrt_f16 s5, exec_lo                ; encoding: [0x05,0x00,0x89,0xd6,0x7e,0x00,0x01,0x02]

v_s_sqrt_f16 s5, exec_hi
// GFX13: v_s_sqrt_f16 s5, exec_hi                ; encoding: [0x05,0x00,0x89,0xd6,0x7f,0x00,0x01,0x02]

v_s_sqrt_f16 s5, null
// GFX13: v_s_sqrt_f16 s5, null                   ; encoding: [0x05,0x00,0x89,0xd6,0x7c,0x00,0x01,0x02]

v_s_sqrt_f16 s5, -1
// GFX13: v_s_sqrt_f16 s5, -1                     ; encoding: [0x05,0x00,0x89,0xd6,0xc1,0x00,0x01,0x02]

v_s_sqrt_f16 s5, 0.5
// GFX13: v_s_sqrt_f16 s5, 0.5                    ; encoding: [0x05,0x00,0x89,0xd6,0xf0,0x00,0x01,0x02]

v_s_sqrt_f16 s5, src_scc
// GFX13: v_s_sqrt_f16 s5, src_scc                ; encoding: [0x05,0x00,0x89,0xd6,0xfd,0x00,0x01,0x02]

v_s_sqrt_f16 s105, 0xaf12
// GFX13: v_s_sqrt_f16 s105, 0xaf12               ; encoding: [0x69,0x00,0x89,0xd6,0xff,0x00,0x01,0x02,0x12,0xaf,0x00,0x00]

v_s_sqrt_f16 s5, -s1
// GFX13: v_s_sqrt_f16 s5, -s1                    ; encoding: [0x05,0x00,0x89,0xd6,0x01,0x00,0x01,0x22]

v_s_sqrt_f16 s5, |s1|
// GFX13: v_s_sqrt_f16 s5, |s1|                   ; encoding: [0x05,0x01,0x89,0xd6,0x01,0x00,0x01,0x02]

v_s_sqrt_f16 s5, s1 clamp
// GFX13: v_s_sqrt_f16 s5, s1 clamp               ; encoding: [0x05,0x80,0x89,0xd6,0x01,0x00,0x01,0x02]

v_s_sqrt_f16 s5, s1 mul:2
// GFX13: v_s_sqrt_f16 s5, s1 mul:2               ; encoding: [0x05,0x00,0x89,0xd6,0x01,0x00,0x01,0x0a]

v_s_sqrt_f16 s5, s1 mul:4
// GFX13: v_s_sqrt_f16 s5, s1 mul:4               ; encoding: [0x05,0x00,0x89,0xd6,0x01,0x00,0x01,0x12]

v_s_sqrt_f16 s5, s1 div:2
// GFX13: v_s_sqrt_f16 s5, s1 div:2               ; encoding: [0x05,0x00,0x89,0xd6,0x01,0x00,0x01,0x1a]

v_cvt_sr_pk_f16_f32 v5, v1, v2, s3
// GFX13: v_cvt_sr_pk_f16_f32 v5, v1, v2, s3      ; encoding: [0x05,0x00,0xc3,0xd6,0x01,0x05,0x0e,0x00]

v_cvt_sr_pk_f16_f32 v5, v255, s2, s105
// GFX13: v_cvt_sr_pk_f16_f32 v5, v255, s2, s105  ; encoding: [0x05,0x00,0xc3,0xd6,0xff,0x05,0xa4,0x01]

v_cvt_sr_pk_f16_f32 v5, s1, v255, exec_hi
// GFX13: v_cvt_sr_pk_f16_f32 v5, s1, v255, exec_hi ; encoding: [0x05,0x00,0xc3,0xd6,0x01,0xfe,0xff,0x01]

v_cvt_sr_pk_f16_f32 v5, s105, s105, exec_lo
// GFX13: v_cvt_sr_pk_f16_f32 v5, s105, s105, exec_lo ; encoding: [0x05,0x00,0xc3,0xd6,0x69,0xd2,0xf8,0x01]

v_cvt_sr_pk_f16_f32 v5, vcc_lo, ttmp15, v3
// GFX13: v_cvt_sr_pk_f16_f32 v5, vcc_lo, ttmp15, v3 ; encoding: [0x05,0x00,0xc3,0xd6,0x6a,0xf6,0x0c,0x04]

v_cvt_sr_pk_f16_f32 v5, vcc_hi, 0xaf123456, v255
// GFX13: v_cvt_sr_pk_f16_f32 v5, vcc_hi, 0xaf123456, v255 ; encoding: [0x05,0x00,0xc3,0xd6,0x6b,0xfe,0xfd,0x07,0x56,0x34,0x12,0xaf]

v_cvt_sr_pk_f16_f32 v5, -|ttmp15|, -|src_scc|, ttmp15
// GFX13: v_cvt_sr_pk_f16_f32 v5, -|ttmp15|, -|src_scc|, ttmp15 ; encoding: [0x05,0x03,0xc3,0xd6,0x7b,0xfa,0xed,0x61]

v_cvt_sr_pk_f16_f32 v5, m0, 0.5, m0
// GFX13: v_cvt_sr_pk_f16_f32 v5, m0, 0.5, m0     ; encoding: [0x05,0x00,0xc3,0xd6,0x7d,0xe0,0xf5,0x01]

v_cvt_sr_pk_f16_f32 v5, |exec_lo|, -1, vcc_hi
// GFX13: v_cvt_sr_pk_f16_f32 v5, |exec_lo|, -1, vcc_hi ; encoding: [0x05,0x01,0xc3,0xd6,0x7e,0x82,0xad,0x01]

v_cvt_sr_pk_f16_f32 v5, -|exec_hi|, null, vcc_lo
// GFX13: v_cvt_sr_pk_f16_f32 v5, -|exec_hi|, null, vcc_lo ; encoding: [0x05,0x01,0xc3,0xd6,0x7f,0xf8,0xa8,0x21]

v_cvt_sr_pk_f16_f32 v5, null, exec_lo, 0xaf123456
// GFX13: v_cvt_sr_pk_f16_f32 v5, null, exec_lo, 0xaf123456 ; encoding: [0x05,0x00,0xc3,0xd6,0x7c,0xfc,0xfc,0x03,0x56,0x34,0x12,0xaf]

v_cvt_sr_pk_f16_f32 v5, -1, -|exec_hi|, src_scc
// GFX13: v_cvt_sr_pk_f16_f32 v5, -1, -|exec_hi|, src_scc ; encoding: [0x05,0x02,0xc3,0xd6,0xc1,0xfe,0xf4,0x43]

v_cvt_sr_pk_f16_f32 v5, 0.5, -m0, 0.5 mul:2
// GFX13: v_cvt_sr_pk_f16_f32 v5, 0.5, -m0, 0.5 mul:2 ; encoding: [0x05,0x00,0xc3,0xd6,0xf0,0xfa,0xc0,0x4b]

v_cvt_sr_pk_f16_f32 v5, -src_scc, |vcc_lo|, -1 mul:4
// GFX13: v_cvt_sr_pk_f16_f32 v5, -src_scc, |vcc_lo|, -1 mul:4 ; encoding: [0x05,0x02,0xc3,0xd6,0xfd,0xd4,0x04,0x33]

v_cvt_sr_pk_f16_f32 v255, -|0xaf123456|, -|vcc_hi|, null clamp div:2
// GFX13: v_cvt_sr_pk_f16_f32 v255, -|0xaf123456|, -|vcc_hi|, null clamp div:2 ; encoding: [0xff,0x83,0xc3,0xd6,0xff,0xd6,0xf0,0x79,0x56,0x34,0x12,0xaf]

v_cvt_pk_f16_f32 v5, v1, v2
// GFX13: v_cvt_pk_f16_f32 v5, v1, v2             ; encoding: [0x05,0x00,0x74,0xd7,0x01,0x05,0x02,0x02]

v_cvt_pk_f16_f32 v5, v255, v255
// GFX13: v_cvt_pk_f16_f32 v5, v255, v255         ; encoding: [0x05,0x00,0x74,0xd7,0xff,0xff,0x03,0x02]

v_cvt_pk_f16_f32 v5, s1, s2
// GFX13: v_cvt_pk_f16_f32 v5, s1, s2             ; encoding: [0x05,0x00,0x74,0xd7,0x01,0x04,0x00,0x02]

v_cvt_pk_f16_f32 v5, s105, s105
// GFX13: v_cvt_pk_f16_f32 v5, s105, s105         ; encoding: [0x05,0x00,0x74,0xd7,0x69,0xd2,0x00,0x02]

v_cvt_pk_f16_f32 v5, vcc_lo, ttmp15
// GFX13: v_cvt_pk_f16_f32 v5, vcc_lo, ttmp15     ; encoding: [0x05,0x00,0x74,0xd7,0x6a,0xf6,0x00,0x02]

v_cvt_pk_f16_f32 v5, vcc_hi, 0xaf123456
// GFX13: v_cvt_pk_f16_f32 v5, vcc_hi, 0xaf123456 ; encoding: [0x05,0x00,0x74,0xd7,0x6b,0xfe,0x01,0x02,0x56,0x34,0x12,0xaf]

v_cvt_pk_f16_f32 v5, ttmp15, src_scc
// GFX13: v_cvt_pk_f16_f32 v5, ttmp15, src_scc    ; encoding: [0x05,0x00,0x74,0xd7,0x7b,0xfa,0x01,0x02]

v_cvt_pk_f16_f32 v5, m0, 0.5
// GFX13: v_cvt_pk_f16_f32 v5, m0, 0.5            ; encoding: [0x05,0x00,0x74,0xd7,0x7d,0xe0,0x01,0x02]

v_cvt_pk_f16_f32 v5, exec_lo, -1
// GFX13: v_cvt_pk_f16_f32 v5, exec_lo, -1        ; encoding: [0x05,0x00,0x74,0xd7,0x7e,0x82,0x01,0x02]

v_cvt_pk_f16_f32 v5, exec_hi, null
// GFX13: v_cvt_pk_f16_f32 v5, exec_hi, null      ; encoding: [0x05,0x00,0x74,0xd7,0x7f,0xf8,0x00,0x02]

v_cvt_pk_f16_f32 v5, null, exec_lo
// GFX13: v_cvt_pk_f16_f32 v5, null, exec_lo      ; encoding: [0x05,0x00,0x74,0xd7,0x7c,0xfc,0x00,0x02]

v_cvt_pk_f16_f32 v5, -1, exec_hi
// GFX13: v_cvt_pk_f16_f32 v5, -1, exec_hi        ; encoding: [0x05,0x00,0x74,0xd7,0xc1,0xfe,0x00,0x02]

v_cvt_pk_f16_f32 v5, 0.5, m0 mul:2
// GFX13: v_cvt_pk_f16_f32 v5, 0.5, m0 mul:2      ; encoding: [0x05,0x00,0x74,0xd7,0xf0,0xfa,0x00,0x0a]

v_cvt_pk_f16_f32 v5, src_scc, vcc_lo mul:4
// GFX13: v_cvt_pk_f16_f32 v5, src_scc, vcc_lo mul:4 ; encoding: [0x05,0x00,0x74,0xd7,0xfd,0xd4,0x00,0x12]

v_cvt_pk_f16_f32 v255, -|0xaf123456|, vcc_hi clamp div:2
// GFX13: v_cvt_pk_f16_f32 v255, -|0xaf123456|, vcc_hi clamp div:2 ; encoding: [0xff,0x81,0x74,0xd7,0xff,0xd6,0x00,0x3a,0x56,0x34,0x12,0xaf]

v_cvt_sr_pk_bf16_f32 v5, v1, v2, s3
// GFX13: v_cvt_sr_pk_bf16_f32 v5, v1, v2, s3     ; encoding: [0x05,0x00,0xc2,0xd6,0x01,0x05,0x0e,0x00]

v_cvt_sr_pk_bf16_f32 v5, v255, s2, s105
// GFX13: v_cvt_sr_pk_bf16_f32 v5, v255, s2, s105 ; encoding: [0x05,0x00,0xc2,0xd6,0xff,0x05,0xa4,0x01]

v_cvt_sr_pk_bf16_f32 v5, s1, v255, exec_hi
// GFX13: v_cvt_sr_pk_bf16_f32 v5, s1, v255, exec_hi ; encoding: [0x05,0x00,0xc2,0xd6,0x01,0xfe,0xff,0x01]

v_cvt_sr_pk_bf16_f32 v5, s105, s105, exec_lo
// GFX13: v_cvt_sr_pk_bf16_f32 v5, s105, s105, exec_lo ; encoding: [0x05,0x00,0xc2,0xd6,0x69,0xd2,0xf8,0x01]

v_cvt_sr_pk_bf16_f32 v5, vcc_lo, ttmp15, v3
// GFX13: v_cvt_sr_pk_bf16_f32 v5, vcc_lo, ttmp15, v3 ; encoding: [0x05,0x00,0xc2,0xd6,0x6a,0xf6,0x0c,0x04]

v_cvt_sr_pk_bf16_f32 v5, vcc_hi, 0xaf123456, v255
// GFX13: v_cvt_sr_pk_bf16_f32 v5, vcc_hi, 0xaf123456, v255 ; encoding: [0x05,0x00,0xc2,0xd6,0x6b,0xfe,0xfd,0x07,0x56,0x34,0x12,0xaf]

v_cvt_sr_pk_bf16_f32 v5, -|ttmp15|, -|src_scc|, ttmp15
// GFX13: v_cvt_sr_pk_bf16_f32 v5, -|ttmp15|, -|src_scc|, ttmp15 ; encoding: [0x05,0x03,0xc2,0xd6,0x7b,0xfa,0xed,0x61]

v_cvt_sr_pk_bf16_f32 v5, m0, 0.5, m0
// GFX13: v_cvt_sr_pk_bf16_f32 v5, m0, 0.5, m0    ; encoding: [0x05,0x00,0xc2,0xd6,0x7d,0xe0,0xf5,0x01]

v_cvt_sr_pk_bf16_f32 v5, |exec_lo|, -1, vcc_hi
// GFX13: v_cvt_sr_pk_bf16_f32 v5, |exec_lo|, -1, vcc_hi ; encoding: [0x05,0x01,0xc2,0xd6,0x7e,0x82,0xad,0x01]

v_cvt_sr_pk_bf16_f32 v5, -|exec_hi|, null, vcc_lo
// GFX13: v_cvt_sr_pk_bf16_f32 v5, -|exec_hi|, null, vcc_lo ; encoding: [0x05,0x01,0xc2,0xd6,0x7f,0xf8,0xa8,0x21]

v_cvt_sr_pk_bf16_f32 v5, null, exec_lo, 0xaf123456
// GFX13: v_cvt_sr_pk_bf16_f32 v5, null, exec_lo, 0xaf123456 ; encoding: [0x05,0x00,0xc2,0xd6,0x7c,0xfc,0xfc,0x03,0x56,0x34,0x12,0xaf]

v_cvt_sr_pk_bf16_f32 v5, -1, -|exec_hi|, src_scc
// GFX13: v_cvt_sr_pk_bf16_f32 v5, -1, -|exec_hi|, src_scc ; encoding: [0x05,0x02,0xc2,0xd6,0xc1,0xfe,0xf4,0x43]

v_cvt_sr_pk_bf16_f32 v5, 0.5, -m0, 0.5 mul:2
// GFX13: v_cvt_sr_pk_bf16_f32 v5, 0.5, -m0, 0.5 mul:2 ; encoding: [0x05,0x00,0xc2,0xd6,0xf0,0xfa,0xc0,0x4b]

v_cvt_sr_pk_bf16_f32 v5, -src_scc, |vcc_lo|, -1 mul:4
// GFX13: v_cvt_sr_pk_bf16_f32 v5, -src_scc, |vcc_lo|, -1 mul:4 ; encoding: [0x05,0x02,0xc2,0xd6,0xfd,0xd4,0x04,0x33]

v_cvt_sr_pk_bf16_f32 v255, -|0xaf123456|, -|vcc_hi|, null clamp div:2
// GFX13: v_cvt_sr_pk_bf16_f32 v255, -|0xaf123456|, -|vcc_hi|, null clamp div:2 ; encoding: [0xff,0x83,0xc2,0xd6,0xff,0xd6,0xf0,0x79,0x56,0x34,0x12,0xaf]

v_cvt_scalef32_pk8_fp8_f32 v[10:11], v[20:27], v8
// W32: v_cvt_scalef32_pk8_fp8_f32 v[10:11], v[20:27], v8 ; encoding: [0x0a,0x00,0xa3,0xd6,0x14,0x11,0x02,0x02]
// W64-ERR: :[[@LINE-2]]:1: error: instruction requires wavesize=32

v_cvt_scalef32_pk8_fp8_f32 v[10:11], v[20:27], 100.0
// W32: v_cvt_scalef32_pk8_fp8_f32 v[10:11], v[20:27], 0x42c80000 ; encoding: [0x0a,0x00,0xa3,0xd6,0x14,0xff,0x01,0x02,0x00,0x00,0xc8,0x42]
// W64-ERR: :[[@LINE-2]]:1: error: instruction requires wavesize=32

v_cvt_scalef32_pk8_fp4_f32 v10, v[20:27], v8
// W32: v_cvt_scalef32_pk8_fp4_f32 v10, v[20:27], v8 ; encoding: [0x0a,0x00,0xa0,0xd6,0x14,0x11,0x02,0x02]
// W64-ERR: :[[@LINE-2]]:1: error: instruction requires wavesize=32

v_cvt_scalef32_pk8_fp4_f32 v10, v[20:27], 100.0
// W32: v_cvt_scalef32_pk8_fp4_f32 v10, v[20:27], 0x42c80000 ; encoding: [0x0a,0x00,0xa0,0xd6,0x14,0xff,0x01,0x02,0x00,0x00,0xc8,0x42]
// W64-ERR: :[[@LINE-2]]:1: error: instruction requires wavesize=32

v_cvt_scalef32_sr_pk8_fp4_f32 v10, v[20:27], v4, v8
// W32: v_cvt_scalef32_sr_pk8_fp4_f32 v10, v[20:27], v4, v8 ; encoding: [0x0a,0x00,0xaf,0xd6,0x14,0x09,0x22,0x04]
// W64-ERR: :[[@LINE-2]]:1: error: instruction requires wavesize=32

v_cvt_scalef32_sr_pk8_fp4_f32 v10, v[20:27], s4, 100.0
// W32: v_cvt_scalef32_sr_pk8_fp4_f32 v10, v[20:27], s4, 0x42c80000 ; encoding: [0x0a,0x00,0xaf,0xd6,0x14,0x09,0xfc,0x03,0x00,0x00,0xc8,0x42]
// W64-ERR: :[[@LINE-2]]:1: error: instruction requires wavesize=32

v_cvt_scalef32_sr_pk8_fp8_f32 v[10:11], v[20:27], v4, v8
// W32: v_cvt_scalef32_sr_pk8_fp8_f32 v[10:11], v[20:27], v4, v8 ; encoding: [0x0a,0x00,0xb2,0xd6,0x14,0x09,0x22,0x04]
// W64-ERR: :[[@LINE-2]]:1: error: instruction requires wavesize=32

v_cvt_scalef32_sr_pk8_fp8_f32 v[10:11], v[20:27], s4, 100.0
// W32: v_cvt_scalef32_sr_pk8_fp8_f32 v[10:11], v[20:27], s4, 0x42c80000 ; encoding: [0x0a,0x00,0xb2,0xd6,0x14,0x09,0xfc,0x03,0x00,0x00,0xc8,0x42]
// W64-ERR: :[[@LINE-2]]:1: error: instruction requires wavesize=32

v_cvt_scalef32_sr_pk8_bf8_f32 v[10:11], v[20:27], v4, v8
// W32: v_cvt_scalef32_sr_pk8_bf8_f32 v[10:11], v[20:27], v4, v8 ; encoding: [0x0a,0x00,0xac,0xd6,0x14,0x09,0x22,0x04]
// W64-ERR: :[[@LINE-2]]:1: error: instruction requires wavesize=32

v_cvt_scalef32_sr_pk8_bf8_f32 v[10:11], v[20:27], s4, 100.0
// W32: v_cvt_scalef32_sr_pk8_bf8_f32 v[10:11], v[20:27], s4, 0x42c80000 ; encoding: [0x0a,0x00,0xac,0xd6,0x14,0x09,0xfc,0x03,0x00,0x00,0xc8,0x42]
// W64-ERR: :[[@LINE-2]]:1: error: instruction requires wavesize=32

v_cvt_scalef32_pk8_fp4_f16 v10, v[20:23], v8
// W32: v_cvt_scalef32_pk8_fp4_f16 v10, v[20:23], v8 ; encoding: [0x0a,0x00,0x9f,0xd6,0x14,0x11,0x02,0x02]
// W64-ERR: :[[@LINE-2]]:1: error: instruction requires wavesize=32

v_cvt_scalef32_pk8_fp4_f16 v10, v[20:23], 100.0
// W32: v_cvt_scalef32_pk8_fp4_f16 v10, v[20:23], 0x42c80000 ; encoding: [0x0a,0x00,0x9f,0xd6,0x14,0xff,0x01,0x02,0x00,0x00,0xc8,0x42]
// W64-ERR: :[[@LINE-2]]:1: error: instruction requires wavesize=32

v_cvt_scalef32_pk8_bf8_bf16 v[10:11], v[20:23], v8
// W32: v_cvt_scalef32_pk8_bf8_bf16 v[10:11], v[20:23], v8 ; encoding: [0x0a,0x00,0x9b,0xd6,0x14,0x11,0x02,0x02]
// W64-ERR: :[[@LINE-2]]:1: error: instruction requires wavesize=32

v_cvt_scalef32_pk8_bf8_bf16 v[10:11], v[20:23], 100.0
// W32: v_cvt_scalef32_pk8_bf8_bf16 v[10:11], v[20:23], 0x42c80000 ; encoding: [0x0a,0x00,0x9b,0xd6,0x14,0xff,0x01,0x02,0x00,0x00,0xc8,0x42]
// W64-ERR: :[[@LINE-2]]:1: error: instruction requires wavesize=32

v_cvt_scalef32_pk8_fp8_bf16 v[10:11], v[20:23], v8
// W32: v_cvt_scalef32_pk8_fp8_bf16 v[10:11], v[20:23], v8 ; encoding: [0x0a,0x00,0xa1,0xd6,0x14,0x11,0x02,0x02]
// W64-ERR: :[[@LINE-2]]:1: error: instruction requires wavesize=32

v_cvt_scalef32_pk8_fp8_bf16 v[10:11], v[20:23], 100.0
// W32: v_cvt_scalef32_pk8_fp8_bf16 v[10:11], v[20:23], 0x42c80000 ; encoding: [0x0a,0x00,0xa1,0xd6,0x14,0xff,0x01,0x02,0x00,0x00,0xc8,0x42]
// W64-ERR: :[[@LINE-2]]:1: error: instruction requires wavesize=32

v_cvt_scalef32_pk8_fp4_bf16 v10, v[20:23], v8
// W32: v_cvt_scalef32_pk8_fp4_bf16 v10, v[20:23], v8 ; encoding: [0x0a,0x00,0x9e,0xd6,0x14,0x11,0x02,0x02]
// W64-ERR: :[[@LINE-2]]:1: error: instruction requires wavesize=32

v_cvt_scalef32_pk8_fp4_bf16 v10, v[20:23], 100.0
// W32: v_cvt_scalef32_pk8_fp4_bf16 v10, v[20:23], 0x42c80000 ; encoding: [0x0a,0x00,0x9e,0xd6,0x14,0xff,0x01,0x02,0x00,0x00,0xc8,0x42]
// W64-ERR: :[[@LINE-2]]:1: error: instruction requires wavesize=32

v_cvt_scalef32_sr_pk8_fp4_f16 v10, v[20:23], v4, v8
// W32: v_cvt_scalef32_sr_pk8_fp4_f16 v10, v[20:23], v4, v8 ; encoding: [0x0a,0x00,0xae,0xd6,0x14,0x09,0x22,0x04]
// W64-ERR: :[[@LINE-2]]:1: error: instruction requires wavesize=32

v_cvt_scalef32_sr_pk8_fp4_f16 v10, v[20:23], s4, 100.0
// W32: v_cvt_scalef32_sr_pk8_fp4_f16 v10, v[20:23], s4, 0x42c80000 ; encoding: [0x0a,0x00,0xae,0xd6,0x14,0x09,0xfc,0x03,0x00,0x00,0xc8,0x42]
// W64-ERR: :[[@LINE-2]]:1: error: instruction requires wavesize=32

v_cvt_scalef32_sr_pk8_fp4_bf16 v10, v[20:23], v4, v8
// W32: v_cvt_scalef32_sr_pk8_fp4_bf16 v10, v[20:23], v4, v8 ; encoding: [0x0a,0x00,0xad,0xd6,0x14,0x09,0x22,0x04]
// W64-ERR: :[[@LINE-2]]:1: error: instruction requires wavesize=32

v_cvt_scalef32_sr_pk8_fp4_bf16 v10, v[20:23], s4, 100.0
// W32: v_cvt_scalef32_sr_pk8_fp4_bf16 v10, v[20:23], s4, 0x42c80000 ; encoding: [0x0a,0x00,0xad,0xd6,0x14,0x09,0xfc,0x03,0x00,0x00,0xc8,0x42]
// W64-ERR: :[[@LINE-2]]:1: error: instruction requires wavesize=32

v_cvt_scalef32_sr_pk8_fp8_f16 v[10:11], v[20:23], v4, v8
// W32: v_cvt_scalef32_sr_pk8_fp8_f16 v[10:11], v[20:23], v4, v8 ; encoding: [0x0a,0x00,0xb1,0xd6,0x14,0x09,0x22,0x04]
// W64-ERR: :[[@LINE-2]]:1: error: instruction requires wavesize=32

v_cvt_scalef32_sr_pk8_fp8_f16 v[10:11], v[20:23], s4, 100.0
// W32: v_cvt_scalef32_sr_pk8_fp8_f16 v[10:11], v[20:23], s4, 0x42c80000 ; encoding: [0x0a,0x00,0xb1,0xd6,0x14,0x09,0xfc,0x03,0x00,0x00,0xc8,0x42]
// W64-ERR: :[[@LINE-2]]:1: error: instruction requires wavesize=32

v_cvt_scalef32_sr_pk8_fp8_bf16 v[10:11], v[20:23], v4, v8
// W32: v_cvt_scalef32_sr_pk8_fp8_bf16 v[10:11], v[20:23], v4, v8 ; encoding: [0x0a,0x00,0xb0,0xd6,0x14,0x09,0x22,0x04]
// W64-ERR: :[[@LINE-2]]:1: error: instruction requires wavesize=32

v_cvt_scalef32_sr_pk8_fp8_bf16 v[10:11], v[20:23], s4, 100.0
// W32: v_cvt_scalef32_sr_pk8_fp8_bf16 v[10:11], v[20:23], s4, 0x42c80000 ; encoding: [0x0a,0x00,0xb0,0xd6,0x14,0x09,0xfc,0x03,0x00,0x00,0xc8,0x42]
// W64-ERR: :[[@LINE-2]]:1: error: instruction requires wavesize=32

v_cvt_scalef32_sr_pk8_bf8_f16 v[10:11], v[20:23], v4, v8
// W32: v_cvt_scalef32_sr_pk8_bf8_f16 v[10:11], v[20:23], v4, v8 ; encoding: [0x0a,0x00,0xab,0xd6,0x14,0x09,0x22,0x04]
// W64-ERR: :[[@LINE-2]]:1: error: instruction requires wavesize=32

v_cvt_scalef32_sr_pk8_bf8_f16 v[10:11], v[20:23], s4, 100.0
// W32: v_cvt_scalef32_sr_pk8_bf8_f16 v[10:11], v[20:23], s4, 0x42c80000 ; encoding: [0x0a,0x00,0xab,0xd6,0x14,0x09,0xfc,0x03,0x00,0x00,0xc8,0x42]
// W64-ERR: :[[@LINE-2]]:1: error: instruction requires wavesize=32

v_cvt_scalef32_sr_pk8_bf8_bf16 v[10:11], v[20:23], v4, v8
// W32: v_cvt_scalef32_sr_pk8_bf8_bf16 v[10:11], v[20:23], v4, v8 ; encoding: [0x0a,0x00,0xaa,0xd6,0x14,0x09,0x22,0x04]
// W64-ERR: :[[@LINE-2]]:1: error: instruction requires wavesize=32

v_cvt_scalef32_sr_pk8_bf8_bf16 v[10:11], v[20:23], s4, 100.0
// W32: v_cvt_scalef32_sr_pk8_bf8_bf16 v[10:11], v[20:23], s4, 0x42c80000 ; encoding: [0x0a,0x00,0xaa,0xd6,0x14,0x09,0xfc,0x03,0x00,0x00,0xc8,0x42]
// W64-ERR: :[[@LINE-2]]:1: error: instruction requires wavesize=32

v_cvt_scalef32_pk8_fp8_f16 v[10:11], v[20:23], v8
// W32: v_cvt_scalef32_pk8_fp8_f16 v[10:11], v[20:23], v8 ; encoding: [0x0a,0x00,0xa2,0xd6,0x14,0x11,0x02,0x02]
// W64-ERR: :[[@LINE-2]]:1: error: instruction requires wavesize=32

v_cvt_scalef32_pk8_fp8_f16 v[10:11], v[20:23], 100.0
// W32: v_cvt_scalef32_pk8_fp8_f16 v[10:11], v[20:23], 0x42c80000 ; encoding: [0x0a,0x00,0xa2,0xd6,0x14,0xff,0x01,0x02,0x00,0x00,0xc8,0x42]
// W64-ERR: :[[@LINE-2]]:1: error: instruction requires wavesize=32

v_cvt_scalef32_pk8_bf8_f32 v[10:11], v[20:27], v8
// W32: v_cvt_scalef32_pk8_bf8_f32 v[10:11], v[20:27], v8 ; encoding: [0x0a,0x00,0x9d,0xd6,0x14,0x11,0x02,0x02]
// W64-ERR: :[[@LINE-2]]:1: error: instruction requires wavesize=32

v_cvt_scalef32_pk8_bf8_f32 v[10:11], v[20:27], 100.0
// W32: v_cvt_scalef32_pk8_bf8_f32 v[10:11], v[20:27], 0x42c80000 ; encoding: [0x0a,0x00,0x9d,0xd6,0x14,0xff,0x01,0x02,0x00,0x00,0xc8,0x42]
// W64-ERR: :[[@LINE-2]]:1: error: instruction requires wavesize=32

v_cvt_scalef32_pk8_bf8_f16 v[10:11], v[20:23], v8
// W32: v_cvt_scalef32_pk8_bf8_f16 v[10:11], v[20:23], v8 ; encoding: [0x0a,0x00,0x9c,0xd6,0x14,0x11,0x02,0x02]
// W64-ERR: :[[@LINE-2]]:1: error: instruction requires wavesize=32

v_cvt_scalef32_pk8_bf8_f16 v[10:11], v[20:23], 100.0
// W32: v_cvt_scalef32_pk8_bf8_f16 v[10:11], v[20:23], 0x42c80000 ; encoding: [0x0a,0x00,0x9c,0xd6,0x14,0xff,0x01,0x02,0x00,0x00,0xc8,0x42]
// W64-ERR: :[[@LINE-2]]:1: error: instruction requires wavesize=32

v_cvt_scalef32_pk32_bf6_bf16 v[20:25], v[10:25], v8
// W32: v_cvt_scalef32_pk32_bf6_bf16 v[20:25], v[10:25], v8 ; encoding: [0x14,0x00,0x95,0xd6,0x0a,0x11,0x02,0x02]
// W64-ERR: :[[@LINE-2]]:1: error: instruction requires wavesize=32

v_cvt_scalef32_pk32_bf6_bf16 v[20:25], v[10:25], 100.0
// W32: v_cvt_scalef32_pk32_bf6_bf16 v[20:25], v[10:25], 0x42c80000 ; encoding: [0x14,0x00,0x95,0xd6,0x0a,0xff,0x01,0x02,0x00,0x00,0xc8,0x42]
// W64-ERR: :[[@LINE-2]]:1: error: instruction requires wavesize=32

v_cvt_scalef32_pk32_bf6_f16 v[20:25], v[10:25], v8
// W32: v_cvt_scalef32_pk32_bf6_f16 v[20:25], v[10:25], v8 ; encoding: [0x14,0x00,0x96,0xd6,0x0a,0x11,0x02,0x02]
// W64-ERR: :[[@LINE-2]]:1: error: instruction requires wavesize=32

v_cvt_scalef32_pk32_bf6_f16 v[20:25], v[10:25], 100.0
// W32: v_cvt_scalef32_pk32_bf6_f16 v[20:25], v[10:25], 0x42c80000 ; encoding: [0x14,0x00,0x96,0xd6,0x0a,0xff,0x01,0x02,0x00,0x00,0xc8,0x42]
// W64-ERR: :[[@LINE-2]]:1: error: instruction requires wavesize=32

v_cvt_scalef32_pk32_bf6_f32 v[20:25], v[6:37], v8
// W32: v_cvt_scalef32_pk32_bf6_f32 v[20:25], v[6:37], v8 ; encoding: [0x14,0x00,0x97,0xd6,0x06,0x11,0x02,0x02]
// W64-ERR: :[[@LINE-2]]:1: error: instruction requires wavesize=32

v_cvt_scalef32_pk32_bf6_f32 v[20:25], v[6:37], 100.0
// W32: v_cvt_scalef32_pk32_bf6_f32 v[20:25], v[6:37], 0x42c80000 ; encoding: [0x14,0x00,0x97,0xd6,0x06,0xff,0x01,0x02,0x00,0x00,0xc8,0x42]
// W64-ERR: :[[@LINE-2]]:1: error: instruction requires wavesize=32

v_cvt_scalef32_pk32_fp6_bf16 v[20:25], v[10:25], v8
// W32: v_cvt_scalef32_pk32_fp6_bf16 v[20:25], v[10:25], v8 ; encoding: [0x14,0x00,0x98,0xd6,0x0a,0x11,0x02,0x02]
// W64-ERR: :[[@LINE-2]]:1: error: instruction requires wavesize=32

v_cvt_scalef32_pk32_fp6_bf16 v[20:25], v[10:25], 100.0
// W32: v_cvt_scalef32_pk32_fp6_bf16 v[20:25], v[10:25], 0x42c80000 ; encoding: [0x14,0x00,0x98,0xd6,0x0a,0xff,0x01,0x02,0x00,0x00,0xc8,0x42]
// W64-ERR: :[[@LINE-2]]:1: error: instruction requires wavesize=32

v_cvt_scalef32_pk32_fp6_f16 v[20:25], v[10:25], v8
// W32: v_cvt_scalef32_pk32_fp6_f16 v[20:25], v[10:25], v8 ; encoding: [0x14,0x00,0x99,0xd6,0x0a,0x11,0x02,0x02]
// W64-ERR: :[[@LINE-2]]:1: error: instruction requires wavesize=32

v_cvt_scalef32_pk32_fp6_f16 v[20:25], v[10:25], 100.0
// W32: v_cvt_scalef32_pk32_fp6_f16 v[20:25], v[10:25], 0x42c80000 ; encoding: [0x14,0x00,0x99,0xd6,0x0a,0xff,0x01,0x02,0x00,0x00,0xc8,0x42]
// W64-ERR: :[[@LINE-2]]:1: error: instruction requires wavesize=32

v_cvt_scalef32_pk32_fp6_f32 v[20:25], v[6:37], v8
// W32: v_cvt_scalef32_pk32_fp6_f32 v[20:25], v[6:37], v8 ; encoding: [0x14,0x00,0x9a,0xd6,0x06,0x11,0x02,0x02]
// W64-ERR: :[[@LINE-2]]:1: error: instruction requires wavesize=32

v_cvt_scalef32_pk32_fp6_f32 v[20:25], v[6:37], 100.0
// W32: v_cvt_scalef32_pk32_fp6_f32 v[20:25], v[6:37], 0x42c80000 ; encoding: [0x14,0x00,0x9a,0xd6,0x06,0xff,0x01,0x02,0x00,0x00,0xc8,0x42]
// W64-ERR: :[[@LINE-2]]:1: error: instruction requires wavesize=32

v_cvt_scalef32_sr_pk32_bf6_bf16 v[0:5], v[6:21], v22, v23
// W32: v_cvt_scalef32_sr_pk32_bf6_bf16 v[0:5], v[6:21], v22, v23 ; encoding: [0x00,0x00,0xa4,0xd6,0x06,0x2d,0x5e,0x04]
// W64-ERR: :[[@LINE-2]]:1: error: instruction requires wavesize=32

v_cvt_scalef32_sr_pk32_bf6_bf16 v[0:5], v[6:21], s3, 100.0
// W32: v_cvt_scalef32_sr_pk32_bf6_bf16 v[0:5], v[6:21], s3, 0x42c80000 ; encoding: [0x00,0x00,0xa4,0xd6,0x06,0x07,0xfc,0x03,0x00,0x00,0xc8,0x42]
// W64-ERR: :[[@LINE-2]]:1: error: instruction requires wavesize=32

v_cvt_scalef32_sr_pk32_bf6_f16 v[0:5], v[6:21], v22, v23
// W32: v_cvt_scalef32_sr_pk32_bf6_f16 v[0:5], v[6:21], v22, v23 ; encoding: [0x00,0x00,0xa5,0xd6,0x06,0x2d,0x5e,0x04]
// W64-ERR: :[[@LINE-2]]:1: error: instruction requires wavesize=32

v_cvt_scalef32_sr_pk32_bf6_f16 v[0:5], v[6:21], s3, 100.0
// W32: v_cvt_scalef32_sr_pk32_bf6_f16 v[0:5], v[6:21], s3, 0x42c80000 ; encoding: [0x00,0x00,0xa5,0xd6,0x06,0x07,0xfc,0x03,0x00,0x00,0xc8,0x42]
// W64-ERR: :[[@LINE-2]]:1: error: instruction requires wavesize=32

v_cvt_scalef32_sr_pk32_bf6_f32 v[0:5], v[6:37], v38, v39
// W32: v_cvt_scalef32_sr_pk32_bf6_f32 v[0:5], v[6:37], v38, v39 ; encoding: [0x00,0x00,0xa6,0xd6,0x06,0x4d,0x9e,0x04]
// W64-ERR: :[[@LINE-2]]:1: error: instruction requires wavesize=32

v_cvt_scalef32_sr_pk32_bf6_f32 v[0:5], v[6:37], s3, 100.0
// W32: v_cvt_scalef32_sr_pk32_bf6_f32 v[0:5], v[6:37], s3, 0x42c80000 ; encoding: [0x00,0x00,0xa6,0xd6,0x06,0x07,0xfc,0x03,0x00,0x00,0xc8,0x42]
// W64-ERR: :[[@LINE-2]]:1: error: instruction requires wavesize=32

v_cvt_scalef32_sr_pk32_fp6_bf16 v[0:5], v[6:21], v22, v23
// W32: v_cvt_scalef32_sr_pk32_fp6_bf16 v[0:5], v[6:21], v22, v23 ; encoding: [0x00,0x00,0xa7,0xd6,0x06,0x2d,0x5e,0x04]
// W64-ERR: :[[@LINE-2]]:1: error: instruction requires wavesize=32

v_cvt_scalef32_sr_pk32_fp6_bf16 v[0:5], v[6:21], s3, 100.0
// W32: v_cvt_scalef32_sr_pk32_fp6_bf16 v[0:5], v[6:21], s3, 0x42c80000 ; encoding: [0x00,0x00,0xa7,0xd6,0x06,0x07,0xfc,0x03,0x00,0x00,0xc8,0x42]
// W64-ERR: :[[@LINE-2]]:1: error: instruction requires wavesize=32

v_cvt_scalef32_sr_pk32_fp6_f16 v[0:5], v[6:21], v22, v23
// W32: v_cvt_scalef32_sr_pk32_fp6_f16 v[0:5], v[6:21], v22, v23 ; encoding: [0x00,0x00,0xa8,0xd6,0x06,0x2d,0x5e,0x04]
// W64-ERR: :[[@LINE-2]]:1: error: instruction requires wavesize=32

v_cvt_scalef32_sr_pk32_fp6_f16 v[0:5], v[6:21], s3, 100.0
// W32: v_cvt_scalef32_sr_pk32_fp6_f16 v[0:5], v[6:21], s3, 0x42c80000 ; encoding: [0x00,0x00,0xa8,0xd6,0x06,0x07,0xfc,0x03,0x00,0x00,0xc8,0x42]
// W64-ERR: :[[@LINE-2]]:1: error: instruction requires wavesize=32

v_cvt_scalef32_sr_pk32_fp6_f32 v[0:5], v[6:37], v38, v39
// W32: v_cvt_scalef32_sr_pk32_fp6_f32 v[0:5], v[6:37], v38, v39 ; encoding: [0x00,0x00,0xa9,0xd6,0x06,0x4d,0x9e,0x04]
// W64-ERR: :[[@LINE-2]]:1: error: instruction requires wavesize=32

v_cvt_scalef32_sr_pk32_fp6_f32 v[0:5], v[6:37], s3, 100.0
// W32: v_cvt_scalef32_sr_pk32_fp6_f32 v[0:5], v[6:37], s3, 0x42c80000 ; encoding: [0x00,0x00,0xa9,0xd6,0x06,0x07,0xfc,0x03,0x00,0x00,0xc8,0x42]
// W64-ERR: :[[@LINE-2]]:1: error: instruction requires wavesize=32
//// NOTE: These prefixes are unused and the list is autogenerated. Do not add tests below this line:
// GFX13-ASM: {{.*}}
// GFX13-DIS: {{.*}}
// W32-ASM: {{.*}}
// W32-DIS: {{.*}}
// W64-ASM: {{.*}}
// W64-DIS: {{.*}}
